;; amdgpu-corpus repo=ROCm/rocFFT kind=compiled arch=gfx906 opt=O3
	.text
	.amdgcn_target "amdgcn-amd-amdhsa--gfx906"
	.amdhsa_code_object_version 6
	.protected	fft_rtc_fwd_len4000_factors_10_10_10_4_wgs_200_tpt_200_halfLds_half_op_CI_CI_sbrr_dirReg ; -- Begin function fft_rtc_fwd_len4000_factors_10_10_10_4_wgs_200_tpt_200_halfLds_half_op_CI_CI_sbrr_dirReg
	.globl	fft_rtc_fwd_len4000_factors_10_10_10_4_wgs_200_tpt_200_halfLds_half_op_CI_CI_sbrr_dirReg
	.p2align	8
	.type	fft_rtc_fwd_len4000_factors_10_10_10_4_wgs_200_tpt_200_halfLds_half_op_CI_CI_sbrr_dirReg,@function
fft_rtc_fwd_len4000_factors_10_10_10_4_wgs_200_tpt_200_halfLds_half_op_CI_CI_sbrr_dirReg: ; @fft_rtc_fwd_len4000_factors_10_10_10_4_wgs_200_tpt_200_halfLds_half_op_CI_CI_sbrr_dirReg
; %bb.0:
	s_load_dwordx4 s[16:19], s[4:5], 0x18
	s_load_dwordx4 s[12:15], s[4:5], 0x0
	;; [unrolled: 1-line block ×3, first 2 shown]
	v_mul_u32_u24_e32 v1, 0x148, v0
	v_add_u32_sdwa v5, s6, v1 dst_sel:DWORD dst_unused:UNUSED_PAD src0_sel:DWORD src1_sel:WORD_1
	s_waitcnt lgkmcnt(0)
	s_load_dwordx2 s[20:21], s[16:17], 0x0
	s_load_dwordx2 s[2:3], s[18:19], 0x0
	v_cmp_lt_u64_e64 s[0:1], s[14:15], 2
	v_mov_b32_e32 v3, 0
	v_mov_b32_e32 v1, 0
	;; [unrolled: 1-line block ×3, first 2 shown]
	s_and_b64 vcc, exec, s[0:1]
	v_mov_b32_e32 v2, 0
	s_cbranch_vccnz .LBB0_8
; %bb.1:
	s_load_dwordx2 s[0:1], s[4:5], 0x10
	s_add_u32 s6, s18, 8
	s_addc_u32 s7, s19, 0
	s_add_u32 s22, s16, 8
	v_mov_b32_e32 v1, 0
	s_addc_u32 s23, s17, 0
	v_mov_b32_e32 v2, 0
	s_waitcnt lgkmcnt(0)
	s_add_u32 s24, s0, 8
	v_mov_b32_e32 v17, v2
	s_addc_u32 s25, s1, 0
	s_mov_b64 s[26:27], 1
	v_mov_b32_e32 v16, v1
.LBB0_2:                                ; =>This Inner Loop Header: Depth=1
	s_load_dwordx2 s[28:29], s[24:25], 0x0
                                        ; implicit-def: $vgpr18_vgpr19
	s_waitcnt lgkmcnt(0)
	v_or_b32_e32 v4, s29, v6
	v_cmp_ne_u64_e32 vcc, 0, v[3:4]
	s_and_saveexec_b64 s[0:1], vcc
	s_xor_b64 s[30:31], exec, s[0:1]
	s_cbranch_execz .LBB0_4
; %bb.3:                                ;   in Loop: Header=BB0_2 Depth=1
	v_cvt_f32_u32_e32 v4, s28
	v_cvt_f32_u32_e32 v7, s29
	s_sub_u32 s0, 0, s28
	s_subb_u32 s1, 0, s29
	v_mac_f32_e32 v4, 0x4f800000, v7
	v_rcp_f32_e32 v4, v4
	v_mul_f32_e32 v4, 0x5f7ffffc, v4
	v_mul_f32_e32 v7, 0x2f800000, v4
	v_trunc_f32_e32 v7, v7
	v_mac_f32_e32 v4, 0xcf800000, v7
	v_cvt_u32_f32_e32 v7, v7
	v_cvt_u32_f32_e32 v4, v4
	v_mul_lo_u32 v8, s0, v7
	v_mul_hi_u32 v9, s0, v4
	v_mul_lo_u32 v11, s1, v4
	v_mul_lo_u32 v10, s0, v4
	v_add_u32_e32 v8, v9, v8
	v_add_u32_e32 v8, v8, v11
	v_mul_hi_u32 v9, v4, v10
	v_mul_lo_u32 v11, v4, v8
	v_mul_hi_u32 v13, v4, v8
	v_mul_hi_u32 v12, v7, v10
	v_mul_lo_u32 v10, v7, v10
	v_mul_hi_u32 v14, v7, v8
	v_add_co_u32_e32 v9, vcc, v9, v11
	v_addc_co_u32_e32 v11, vcc, 0, v13, vcc
	v_mul_lo_u32 v8, v7, v8
	v_add_co_u32_e32 v9, vcc, v9, v10
	v_addc_co_u32_e32 v9, vcc, v11, v12, vcc
	v_addc_co_u32_e32 v10, vcc, 0, v14, vcc
	v_add_co_u32_e32 v8, vcc, v9, v8
	v_addc_co_u32_e32 v9, vcc, 0, v10, vcc
	v_add_co_u32_e32 v4, vcc, v4, v8
	v_addc_co_u32_e32 v7, vcc, v7, v9, vcc
	v_mul_lo_u32 v8, s0, v7
	v_mul_hi_u32 v9, s0, v4
	v_mul_lo_u32 v10, s1, v4
	v_mul_lo_u32 v11, s0, v4
	v_add_u32_e32 v8, v9, v8
	v_add_u32_e32 v8, v8, v10
	v_mul_lo_u32 v12, v4, v8
	v_mul_hi_u32 v13, v4, v11
	v_mul_hi_u32 v14, v4, v8
	;; [unrolled: 1-line block ×3, first 2 shown]
	v_mul_lo_u32 v11, v7, v11
	v_mul_hi_u32 v9, v7, v8
	v_add_co_u32_e32 v12, vcc, v13, v12
	v_addc_co_u32_e32 v13, vcc, 0, v14, vcc
	v_mul_lo_u32 v8, v7, v8
	v_add_co_u32_e32 v11, vcc, v12, v11
	v_addc_co_u32_e32 v10, vcc, v13, v10, vcc
	v_addc_co_u32_e32 v9, vcc, 0, v9, vcc
	v_add_co_u32_e32 v8, vcc, v10, v8
	v_addc_co_u32_e32 v9, vcc, 0, v9, vcc
	v_add_co_u32_e32 v4, vcc, v4, v8
	v_addc_co_u32_e32 v9, vcc, v7, v9, vcc
	v_mad_u64_u32 v[7:8], s[0:1], v5, v9, 0
	v_mul_hi_u32 v10, v5, v4
	v_add_co_u32_e32 v11, vcc, v10, v7
	v_addc_co_u32_e32 v12, vcc, 0, v8, vcc
	v_mad_u64_u32 v[7:8], s[0:1], v6, v4, 0
	v_mad_u64_u32 v[9:10], s[0:1], v6, v9, 0
	v_add_co_u32_e32 v4, vcc, v11, v7
	v_addc_co_u32_e32 v4, vcc, v12, v8, vcc
	v_addc_co_u32_e32 v7, vcc, 0, v10, vcc
	v_add_co_u32_e32 v4, vcc, v4, v9
	v_addc_co_u32_e32 v9, vcc, 0, v7, vcc
	v_mul_lo_u32 v10, s29, v4
	v_mul_lo_u32 v11, s28, v9
	v_mad_u64_u32 v[7:8], s[0:1], s28, v4, 0
	v_add3_u32 v8, v8, v11, v10
	v_sub_u32_e32 v10, v6, v8
	v_mov_b32_e32 v11, s29
	v_sub_co_u32_e32 v7, vcc, v5, v7
	v_subb_co_u32_e64 v10, s[0:1], v10, v11, vcc
	v_subrev_co_u32_e64 v11, s[0:1], s28, v7
	v_subbrev_co_u32_e64 v10, s[0:1], 0, v10, s[0:1]
	v_cmp_le_u32_e64 s[0:1], s29, v10
	v_cndmask_b32_e64 v12, 0, -1, s[0:1]
	v_cmp_le_u32_e64 s[0:1], s28, v11
	v_cndmask_b32_e64 v11, 0, -1, s[0:1]
	v_cmp_eq_u32_e64 s[0:1], s29, v10
	v_cndmask_b32_e64 v10, v12, v11, s[0:1]
	v_add_co_u32_e64 v11, s[0:1], 2, v4
	v_addc_co_u32_e64 v12, s[0:1], 0, v9, s[0:1]
	v_add_co_u32_e64 v13, s[0:1], 1, v4
	v_addc_co_u32_e64 v14, s[0:1], 0, v9, s[0:1]
	v_subb_co_u32_e32 v8, vcc, v6, v8, vcc
	v_cmp_ne_u32_e64 s[0:1], 0, v10
	v_cmp_le_u32_e32 vcc, s29, v8
	v_cndmask_b32_e64 v10, v14, v12, s[0:1]
	v_cndmask_b32_e64 v12, 0, -1, vcc
	v_cmp_le_u32_e32 vcc, s28, v7
	v_cndmask_b32_e64 v7, 0, -1, vcc
	v_cmp_eq_u32_e32 vcc, s29, v8
	v_cndmask_b32_e32 v7, v12, v7, vcc
	v_cmp_ne_u32_e32 vcc, 0, v7
	v_cndmask_b32_e64 v7, v13, v11, s[0:1]
	v_cndmask_b32_e32 v19, v9, v10, vcc
	v_cndmask_b32_e32 v18, v4, v7, vcc
.LBB0_4:                                ;   in Loop: Header=BB0_2 Depth=1
	s_andn2_saveexec_b64 s[0:1], s[30:31]
	s_cbranch_execz .LBB0_6
; %bb.5:                                ;   in Loop: Header=BB0_2 Depth=1
	v_cvt_f32_u32_e32 v4, s28
	s_sub_i32 s30, 0, s28
	v_mov_b32_e32 v19, v3
	v_rcp_iflag_f32_e32 v4, v4
	v_mul_f32_e32 v4, 0x4f7ffffe, v4
	v_cvt_u32_f32_e32 v4, v4
	v_mul_lo_u32 v7, s30, v4
	v_mul_hi_u32 v7, v4, v7
	v_add_u32_e32 v4, v4, v7
	v_mul_hi_u32 v4, v5, v4
	v_mul_lo_u32 v7, v4, s28
	v_add_u32_e32 v8, 1, v4
	v_sub_u32_e32 v7, v5, v7
	v_subrev_u32_e32 v9, s28, v7
	v_cmp_le_u32_e32 vcc, s28, v7
	v_cndmask_b32_e32 v7, v7, v9, vcc
	v_cndmask_b32_e32 v4, v4, v8, vcc
	v_add_u32_e32 v8, 1, v4
	v_cmp_le_u32_e32 vcc, s28, v7
	v_cndmask_b32_e32 v18, v4, v8, vcc
.LBB0_6:                                ;   in Loop: Header=BB0_2 Depth=1
	s_or_b64 exec, exec, s[0:1]
	v_mul_lo_u32 v4, v19, s28
	v_mul_lo_u32 v9, v18, s29
	v_mad_u64_u32 v[7:8], s[0:1], v18, s28, 0
	s_load_dwordx2 s[0:1], s[22:23], 0x0
	s_load_dwordx2 s[28:29], s[6:7], 0x0
	v_add3_u32 v4, v8, v9, v4
	v_sub_co_u32_e32 v5, vcc, v5, v7
	v_subb_co_u32_e32 v4, vcc, v6, v4, vcc
	s_waitcnt lgkmcnt(0)
	v_mul_lo_u32 v6, s0, v4
	v_mul_lo_u32 v7, s1, v5
	v_mad_u64_u32 v[1:2], s[0:1], s0, v5, v[1:2]
	v_mul_lo_u32 v4, s28, v4
	v_mul_lo_u32 v8, s29, v5
	v_mad_u64_u32 v[16:17], s[0:1], s28, v5, v[16:17]
	s_add_u32 s26, s26, 1
	s_addc_u32 s27, s27, 0
	s_add_u32 s6, s6, 8
	v_add3_u32 v17, v8, v17, v4
	s_addc_u32 s7, s7, 0
	v_mov_b32_e32 v4, s14
	s_add_u32 s22, s22, 8
	v_mov_b32_e32 v5, s15
	s_addc_u32 s23, s23, 0
	v_cmp_ge_u64_e32 vcc, s[26:27], v[4:5]
	s_add_u32 s24, s24, 8
	v_add3_u32 v2, v7, v2, v6
	s_addc_u32 s25, s25, 0
	s_cbranch_vccnz .LBB0_9
; %bb.7:                                ;   in Loop: Header=BB0_2 Depth=1
	v_mov_b32_e32 v5, v18
	v_mov_b32_e32 v6, v19
	s_branch .LBB0_2
.LBB0_8:
	v_mov_b32_e32 v17, v2
	v_mov_b32_e32 v19, v6
	;; [unrolled: 1-line block ×4, first 2 shown]
.LBB0_9:
	s_load_dwordx2 s[0:1], s[4:5], 0x28
	s_lshl_b64 s[14:15], s[14:15], 3
	s_add_u32 s4, s18, s14
	s_addc_u32 s5, s19, s15
                                        ; implicit-def: $vgpr24
                                        ; implicit-def: $vgpr26
                                        ; implicit-def: $vgpr25
                                        ; implicit-def: $vgpr27
                                        ; implicit-def: $vgpr28
	s_waitcnt lgkmcnt(0)
	v_cmp_gt_u64_e32 vcc, s[0:1], v[18:19]
	v_cmp_le_u64_e64 s[0:1], s[0:1], v[18:19]
	s_and_saveexec_b64 s[6:7], s[0:1]
	s_xor_b64 s[0:1], exec, s[6:7]
; %bb.10:
	s_mov_b32 s6, 0x147ae15
	v_mul_hi_u32 v1, v0, s6
	v_mul_u32_u24_e32 v1, 0xc8, v1
	v_sub_u32_e32 v24, v0, v1
	v_add_u32_e32 v26, 0xc8, v24
	v_add_u32_e32 v25, 0x190, v24
	;; [unrolled: 1-line block ×4, first 2 shown]
                                        ; implicit-def: $vgpr0
                                        ; implicit-def: $vgpr1_vgpr2
; %bb.11:
	s_or_saveexec_b64 s[6:7], s[0:1]
                                        ; implicit-def: $vgpr31
                                        ; implicit-def: $vgpr8
                                        ; implicit-def: $vgpr32
                                        ; implicit-def: $vgpr7
                                        ; implicit-def: $vgpr33
                                        ; implicit-def: $vgpr6
                                        ; implicit-def: $vgpr39
                                        ; implicit-def: $vgpr3
                                        ; implicit-def: $vgpr40
                                        ; implicit-def: $vgpr11
                                        ; implicit-def: $vgpr23
                                        ; implicit-def: $vgpr29
                                        ; implicit-def: $vgpr34
                                        ; implicit-def: $vgpr22
                                        ; implicit-def: $vgpr35
                                        ; implicit-def: $vgpr21
                                        ; implicit-def: $vgpr36
                                        ; implicit-def: $vgpr10
                                        ; implicit-def: $vgpr37
                                        ; implicit-def: $vgpr38
                                        ; implicit-def: $vgpr13
                                        ; implicit-def: $vgpr14
                                        ; implicit-def: $vgpr20
                                        ; implicit-def: $vgpr15
                                        ; implicit-def: $vgpr41
                                        ; implicit-def: $vgpr5
                                        ; implicit-def: $vgpr9
                                        ; implicit-def: $vgpr4
                                        ; implicit-def: $vgpr12
                                        ; implicit-def: $vgpr30
	s_xor_b64 exec, exec, s[6:7]
	s_cbranch_execz .LBB0_13
; %bb.12:
	s_add_u32 s0, s16, s14
	s_addc_u32 s1, s17, s15
	s_mov_b32 s14, 0x147ae15
	v_mul_hi_u32 v3, v0, s14
	s_load_dwordx2 s[0:1], s[0:1], 0x0
	v_mul_u32_u24_e32 v3, 0xc8, v3
	v_sub_u32_e32 v24, v0, v3
	s_waitcnt lgkmcnt(0)
	v_mul_lo_u32 v9, s1, v18
	v_mul_lo_u32 v10, s0, v19
	v_mad_u64_u32 v[5:6], s[0:1], s0, v18, 0
	v_mad_u64_u32 v[3:4], s[14:15], s20, v24, 0
	v_add3_u32 v6, v6, v10, v9
	v_lshlrev_b64 v[5:6], 2, v[5:6]
	v_mov_b32_e32 v0, v4
	v_mad_u64_u32 v[7:8], s[0:1], s21, v24, v[0:1]
	v_mov_b32_e32 v0, s9
	v_add_co_u32_e64 v5, s[0:1], s8, v5
	v_addc_co_u32_e64 v6, s[0:1], v0, v6, s[0:1]
	v_lshlrev_b64 v[0:1], 2, v[1:2]
	v_mov_b32_e32 v4, v7
	v_add_co_u32_e64 v38, s[0:1], v5, v0
	v_add_u32_e32 v25, 0x190, v24
	v_addc_co_u32_e64 v41, s[0:1], v6, v1, s[0:1]
	v_lshlrev_b64 v[0:1], 2, v[3:4]
	v_mad_u64_u32 v[2:3], s[0:1], s20, v25, 0
	v_add_co_u32_e64 v0, s[0:1], v38, v0
	v_addc_co_u32_e64 v1, s[0:1], v41, v1, s[0:1]
	v_mad_u64_u32 v[3:4], s[0:1], s21, v25, v[3:4]
	v_add_u32_e32 v27, 0x320, v24
	v_mad_u64_u32 v[4:5], s[0:1], s20, v27, 0
	global_load_dword v8, v[0:1], off
	v_lshlrev_b64 v[0:1], 2, v[2:3]
	v_mov_b32_e32 v2, v5
	v_mad_u64_u32 v[2:3], s[0:1], s21, v27, v[2:3]
	v_add_u32_e32 v9, 0x4b0, v24
	v_mad_u64_u32 v[6:7], s[0:1], s20, v9, 0
	v_mov_b32_e32 v5, v2
	v_add_co_u32_e64 v0, s[0:1], v38, v0
	v_lshlrev_b64 v[2:3], 2, v[4:5]
	v_mov_b32_e32 v4, v7
	v_addc_co_u32_e64 v1, s[0:1], v41, v1, s[0:1]
	v_mad_u64_u32 v[4:5], s[0:1], s21, v9, v[4:5]
	v_add_u32_e32 v5, 0x640, v24
	v_mad_u64_u32 v[9:10], s[0:1], s20, v5, 0
	v_add_co_u32_e64 v11, s[0:1], v38, v2
	v_mov_b32_e32 v7, v4
	v_mov_b32_e32 v4, v10
	v_addc_co_u32_e64 v12, s[0:1], v41, v3, s[0:1]
	v_lshlrev_b64 v[2:3], 2, v[6:7]
	v_mad_u64_u32 v[4:5], s[0:1], s21, v5, v[4:5]
	v_add_u32_e32 v7, 0x7d0, v24
	v_mad_u64_u32 v[5:6], s[0:1], s20, v7, 0
	v_add_co_u32_e64 v13, s[0:1], v38, v2
	v_mov_b32_e32 v10, v4
	v_mov_b32_e32 v4, v6
	v_addc_co_u32_e64 v14, s[0:1], v41, v3, s[0:1]
	v_mad_u64_u32 v[6:7], s[0:1], s21, v7, v[4:5]
	v_add_u32_e32 v7, 0x960, v24
	v_lshlrev_b64 v[2:3], 2, v[9:10]
	v_mad_u64_u32 v[9:10], s[0:1], s20, v7, 0
	v_add_co_u32_e64 v20, s[0:1], v38, v2
	v_mov_b32_e32 v4, v10
	v_addc_co_u32_e64 v21, s[0:1], v41, v3, s[0:1]
	v_lshlrev_b64 v[2:3], 2, v[5:6]
	v_mad_u64_u32 v[4:5], s[0:1], s21, v7, v[4:5]
	v_add_u32_e32 v7, 0xaf0, v24
	v_mad_u64_u32 v[5:6], s[0:1], s20, v7, 0
	v_add_co_u32_e64 v22, s[0:1], v38, v2
	v_mov_b32_e32 v10, v4
	v_mov_b32_e32 v4, v6
	v_addc_co_u32_e64 v23, s[0:1], v41, v3, s[0:1]
	v_mad_u64_u32 v[6:7], s[0:1], s21, v7, v[4:5]
	v_add_u32_e32 v7, 0xc80, v24
	v_lshlrev_b64 v[2:3], 2, v[9:10]
	v_mad_u64_u32 v[9:10], s[0:1], s20, v7, 0
	v_add_co_u32_e64 v28, s[0:1], v38, v2
	v_mov_b32_e32 v4, v10
	v_addc_co_u32_e64 v29, s[0:1], v41, v3, s[0:1]
	v_lshlrev_b64 v[2:3], 2, v[5:6]
	v_mad_u64_u32 v[4:5], s[0:1], s21, v7, v[4:5]
	v_add_u32_e32 v7, 0xe10, v24
	v_mad_u64_u32 v[5:6], s[0:1], s20, v7, 0
	v_add_co_u32_e64 v30, s[0:1], v38, v2
	v_mov_b32_e32 v10, v4
	v_mov_b32_e32 v4, v6
	v_addc_co_u32_e64 v31, s[0:1], v41, v3, s[0:1]
	v_mad_u64_u32 v[6:7], s[0:1], s21, v7, v[4:5]
	v_lshlrev_b64 v[2:3], 2, v[9:10]
	v_add_u32_e32 v26, 0xc8, v24
	v_add_co_u32_e64 v32, s[0:1], v38, v2
	v_addc_co_u32_e64 v33, s[0:1], v41, v3, s[0:1]
	v_lshlrev_b64 v[2:3], 2, v[5:6]
	v_add_u32_e32 v15, 0x3e8, v24
	v_add_co_u32_e64 v34, s[0:1], v38, v2
	v_addc_co_u32_e64 v35, s[0:1], v41, v3, s[0:1]
	global_load_dword v4, v[30:31], off
	global_load_dword v3, v[28:29], off
	;; [unrolled: 1-line block ×3, first 2 shown]
	v_mad_u64_u32 v[36:37], s[0:1], s20, v26, 0
	v_add_u32_e32 v28, 0x258, v24
	global_load_dword v6, v[20:21], off
	global_load_dword v9, v[13:14], off
	;; [unrolled: 1-line block ×4, first 2 shown]
	v_mov_b32_e32 v2, v37
	v_mad_u64_u32 v[13:14], s[0:1], s20, v28, 0
	s_waitcnt vmcnt(5)
	v_mad_u64_u32 v[22:23], s[0:1], s21, v26, v[2:3]
	v_mov_b32_e32 v2, v14
	v_mov_b32_e32 v37, v22
	v_lshlrev_b64 v[0:1], 2, v[36:37]
	v_add_co_u32_e64 v0, s[0:1], v38, v0
	v_addc_co_u32_e64 v1, s[0:1], v41, v1, s[0:1]
	v_mad_u64_u32 v[10:11], s[0:1], s21, v28, v[2:3]
	v_mad_u64_u32 v[20:21], s[0:1], s20, v15, 0
	v_mov_b32_e32 v14, v10
	global_load_dword v11, v[32:33], off
	global_load_dword v12, v[34:35], off
	;; [unrolled: 1-line block ×3, first 2 shown]
	v_mov_b32_e32 v2, v21
	v_lshlrev_b64 v[0:1], 2, v[13:14]
	v_mad_u64_u32 v[13:14], s[0:1], s21, v15, v[2:3]
	v_add_u32_e32 v10, 0x578, v24
	v_mad_u64_u32 v[14:15], s[0:1], s20, v10, 0
	v_add_co_u32_e64 v0, s[0:1], v38, v0
	v_mov_b32_e32 v2, v15
	v_addc_co_u32_e64 v1, s[0:1], v41, v1, s[0:1]
	v_mad_u64_u32 v[22:23], s[0:1], s21, v10, v[2:3]
	v_add_u32_e32 v10, 0x708, v24
	v_mad_u64_u32 v[31:32], s[0:1], s20, v10, 0
	v_mov_b32_e32 v21, v13
	v_lshlrev_b64 v[20:21], 2, v[20:21]
	v_mov_b32_e32 v2, v32
	v_add_co_u32_e64 v33, s[0:1], v38, v20
	v_addc_co_u32_e64 v34, s[0:1], v41, v21, s[0:1]
	v_mad_u64_u32 v[20:21], s[0:1], s21, v10, v[2:3]
	v_add_u32_e32 v10, 0x898, v24
	v_mov_b32_e32 v15, v22
	v_mad_u64_u32 v[21:22], s[0:1], s20, v10, 0
	v_lshlrev_b64 v[13:14], 2, v[14:15]
	v_mov_b32_e32 v32, v20
	v_add_co_u32_e64 v35, s[0:1], v38, v13
	v_mov_b32_e32 v2, v22
	v_addc_co_u32_e64 v36, s[0:1], v41, v14, s[0:1]
	v_mad_u64_u32 v[22:23], s[0:1], s21, v10, v[2:3]
	v_add_u32_e32 v10, 0xa28, v24
	v_lshlrev_b64 v[13:14], 2, v[31:32]
	v_mad_u64_u32 v[31:32], s[0:1], s20, v10, 0
	v_add_co_u32_e64 v39, s[0:1], v38, v13
	v_mov_b32_e32 v2, v32
	v_addc_co_u32_e64 v40, s[0:1], v41, v14, s[0:1]
	v_lshlrev_b64 v[13:14], 2, v[21:22]
	v_mad_u64_u32 v[20:21], s[0:1], s21, v10, v[2:3]
	v_add_co_u32_e64 v42, s[0:1], v38, v13
	v_add_u32_e32 v10, 0xbb8, v24
	v_addc_co_u32_e64 v43, s[0:1], v41, v14, s[0:1]
	v_mov_b32_e32 v32, v20
	v_mad_u64_u32 v[20:21], s[0:1], s20, v10, 0
	v_lshlrev_b64 v[13:14], 2, v[31:32]
	v_add_u32_e32 v15, 0xd48, v24
	v_add_co_u32_e64 v13, s[0:1], v38, v13
	v_mov_b32_e32 v2, v21
	v_addc_co_u32_e64 v14, s[0:1], v41, v14, s[0:1]
	v_mad_u64_u32 v[21:22], s[0:1], s21, v10, v[2:3]
	v_mad_u64_u32 v[22:23], s[0:1], s20, v15, 0
	global_load_dword v10, v[13:14], off
	v_lshlrev_b64 v[13:14], 2, v[20:21]
	v_mov_b32_e32 v2, v23
	v_mad_u64_u32 v[20:21], s[0:1], s21, v15, v[2:3]
	v_add_u32_e32 v15, 0xed8, v24
	v_mad_u64_u32 v[31:32], s[0:1], s20, v15, 0
	v_add_co_u32_e64 v44, s[0:1], v38, v13
	v_mov_b32_e32 v2, v32
	v_addc_co_u32_e64 v45, s[0:1], v41, v14, s[0:1]
	v_mov_b32_e32 v23, v20
	v_mad_u64_u32 v[20:21], s[0:1], s21, v15, v[2:3]
	v_lshlrev_b64 v[13:14], 2, v[22:23]
	s_waitcnt vmcnt(1)
	v_lshrrev_b32_e32 v23, 16, v29
	v_add_co_u32_e64 v46, s[0:1], v38, v13
	v_mov_b32_e32 v32, v20
	v_addc_co_u32_e64 v47, s[0:1], v41, v14, s[0:1]
	v_lshlrev_b64 v[13:14], 2, v[31:32]
	v_add_co_u32_e64 v31, s[0:1], v38, v13
	v_addc_co_u32_e64 v32, s[0:1], v41, v14, s[0:1]
	global_load_dword v13, v[42:43], off
	global_load_dword v21, v[39:40], off
	;; [unrolled: 1-line block ×8, first 2 shown]
	v_lshrrev_b32_e32 v31, 16, v8
	v_lshrrev_b32_e32 v32, 16, v7
	;; [unrolled: 1-line block ×5, first 2 shown]
	s_waitcnt vmcnt(8)
	v_lshrrev_b32_e32 v36, 16, v10
	s_waitcnt vmcnt(6)
	v_lshrrev_b32_e32 v35, 16, v21
	;; [unrolled: 2-line block ×4, first 2 shown]
.LBB0_13:
	s_or_b64 exec, exec, s[6:7]
	v_sub_f16_e32 v2, v7, v6
	v_sub_f16_e32 v42, v11, v3
	v_add_f16_e32 v2, v2, v42
	v_add_f16_e32 v42, v7, v11
	s_movk_i32 s9, 0x3b9c
	v_sub_f16_e32 v1, v33, v39
	s_mov_b32 s7, 0xbb9c
	v_fma_f16 v42, v42, -0.5, v8
	v_sub_f16_e32 v0, v32, v40
	s_movk_i32 s14, 0x38b4
	s_mov_b32 s8, 0xb8b4
	v_fma_f16 v43, v1, s7, v42
	v_sub_f16_e32 v44, v6, v7
	v_sub_f16_e32 v45, v3, v11
	v_fma_f16 v42, v1, s9, v42
	s_movk_i32 s6, 0x34f2
	v_fma_f16 v43, v0, s14, v43
	v_add_f16_e32 v44, v44, v45
	v_fma_f16 v42, v0, s8, v42
	v_fma_f16 v43, v44, s6, v43
	;; [unrolled: 1-line block ×3, first 2 shown]
	v_pk_add_f16 v44, v9, v5 neg_lo:[0,1] neg_hi:[0,1]
	v_pk_add_f16 v45, v12, v4 neg_lo:[0,1] neg_hi:[0,1]
	v_sub_f16_sdwa v46, v9, v5 dst_sel:DWORD dst_unused:UNUSED_PAD src0_sel:WORD_1 src1_sel:WORD_1
	v_sub_f16_sdwa v47, v12, v4 dst_sel:DWORD dst_unused:UNUSED_PAD src0_sel:WORD_1 src1_sel:WORD_1
	v_pk_add_f16 v44, v44, v45
	v_pk_add_f16 v45, v5, v9 neg_lo:[0,1] neg_hi:[0,1]
	v_add_f16_e32 v46, v46, v47
	v_pk_add_f16 v47, v4, v12 neg_lo:[0,1] neg_hi:[0,1]
	v_pk_add_f16 v45, v45, v47
	v_pk_add_f16 v47, v9, v12
	v_pk_add_f16 v48, v5, v4 neg_lo:[0,1] neg_hi:[0,1]
	v_pk_fma_f16 v47, v47, 0.5, v30 op_sel_hi:[1,0,1] neg_lo:[1,0,0] neg_hi:[1,0,0]
	v_pk_mul_f16 v49, v48, s9 op_sel_hi:[1,0]
	v_pk_add_f16 v50, v49, v47 op_sel:[1,0] op_sel_hi:[0,1]
	v_pk_add_f16 v47, v47, v49 op_sel:[0,1] op_sel_hi:[1,0] neg_lo:[0,1] neg_hi:[0,1]
	v_pk_add_f16 v49, v9, v12 neg_lo:[0,1] neg_hi:[0,1]
	v_pk_mul_f16 v51, v49, s14 op_sel_hi:[1,0]
	v_pk_add_f16 v50, v50, v51 op_sel:[0,1] op_sel_hi:[1,0] neg_lo:[0,1] neg_hi:[0,1]
	v_pk_add_f16 v47, v51, v47 op_sel:[1,0] op_sel_hi:[0,1]
	v_pk_fma_f16 v50, v45, s6, v50 op_sel_hi:[1,0,1]
	v_pk_fma_f16 v45, v45, s6, v47 op_sel_hi:[1,0,1]
	v_mul_f16_e32 v47, 0x34f2, v45
	v_lshrrev_b32_e32 v51, 16, v50
	v_fma_f16 v47, v51, s9, v47
	v_mul_f16_e32 v51, 0x34f2, v50
	v_lshrrev_b32_e32 v52, 16, v45
	v_add_f16_e32 v56, v5, v4
	v_fma_f16 v51, v52, s9, -v51
	v_add_f16_e32 v55, v30, v9
	v_fma_f16 v56, v56, -0.5, v30
	v_lshrrev_b32_e32 v30, 16, v30
	v_add_f16_sdwa v59, v5, v4 dst_sel:DWORD dst_unused:UNUSED_PAD src0_sel:WORD_1 src1_sel:WORD_1
	v_add_f16_e32 v52, v43, v47
	v_add_f16_e32 v53, v42, v51
	s_mov_b32 s0, 0xffff
	v_fma_f16 v59, v59, -0.5, v30
	v_pack_b32_f16 v52, v52, v53
	v_add_f16_e32 v53, v6, v3
	v_bfi_b32 v44, s0, v44, v48
	s_mov_b32 s1, 0x38b434f2
	v_lshrrev_b32_e32 v57, 16, v49
	v_fma_f16 v60, v49, s7, v59
	v_fma_f16 v53, v53, -0.5, v8
	v_add_f16_e32 v8, v8, v7
	v_pk_mul_f16 v44, v44, s1
	v_fma_f16 v58, v57, s9, v56
	v_fma_f16 v60, v48, s8, v60
	v_add_f16_e32 v8, v8, v6
	v_fma_f16 v54, v0, s9, v53
	v_add_f16_e32 v55, v55, v5
	v_add_f16_sdwa v58, v44, v58 dst_sel:DWORD dst_unused:UNUSED_PAD src0_sel:WORD_1 src1_sel:DWORD
	v_fma_f16 v60, v46, s6, v60
	v_add_f16_e32 v8, v8, v3
	v_fma_f16 v54, v1, s14, v54
	v_add_f16_e32 v55, v55, v4
	v_add_f16_e32 v58, v44, v58
	s_movk_i32 s15, 0x3a79
	v_mul_f16_e32 v61, 0x38b4, v60
	v_add_f16_e32 v8, v8, v11
	v_fma_f16 v54, v2, s6, v54
	v_add_f16_e32 v55, v55, v12
	v_fma_f16 v61, v58, s15, v61
	v_fma_f16 v0, v0, s7, v53
	v_add_f16_e32 v62, v8, v55
	v_add_f16_e32 v63, v54, v61
	v_fma_f16 v0, v1, s8, v0
	v_pack_b32_f16 v62, v62, v63
	v_mul_u32_u24_e32 v63, 10, v24
	v_fma_f16 v0, v2, s6, v0
	v_fma_f16 v1, v57, s7, v56
	;; [unrolled: 1-line block ×3, first 2 shown]
	v_lshl_add_u32 v63, v63, 1, 0
	v_sub_f16_sdwa v1, v1, v44 dst_sel:DWORD dst_unused:UNUSED_PAD src0_sel:DWORD src1_sel:WORD_1
	v_fma_f16 v2, v48, s14, v2
	ds_write2_b32 v63, v62, v52 offset1:1
	v_add_f16_e32 v1, v44, v1
	v_fma_f16 v52, v46, s6, v2
	v_sub_f16_e32 v2, v8, v55
	v_sub_f16_e32 v8, v54, v61
	;; [unrolled: 1-line block ×3, first 2 shown]
	v_pack_b32_f16 v8, v8, v43
	v_mul_f16_e32 v43, 0x3a79, v1
	v_fma_f16 v43, v52, s14, -v43
	v_add_f16_e32 v44, v0, v43
	v_pack_b32_f16 v2, v44, v2
	ds_write2_b32 v63, v2, v8 offset0:2 offset1:3
	v_sub_f16_e32 v2, v22, v21
	v_sub_f16_e32 v8, v38, v10
	;; [unrolled: 1-line block ×3, first 2 shown]
	v_add_f16_e32 v2, v2, v8
	v_sub_f16_e32 v8, v21, v22
	v_sub_f16_e32 v43, v10, v38
	v_add_f16_e32 v8, v8, v43
	v_add_f16_e32 v43, v22, v38
	v_fma_f16 v43, v43, -0.5, v29
	v_sub_f16_e32 v46, v35, v36
	v_sub_f16_e32 v44, v34, v37
	v_fma_f16 v47, v46, s7, v43
	v_fma_f16 v43, v46, s9, v43
	;; [unrolled: 1-line block ×6, first 2 shown]
	v_pk_add_f16 v43, v14, v13 neg_lo:[0,1] neg_hi:[0,1]
	s_waitcnt vmcnt(0)
	v_pk_add_f16 v48, v15, v20 neg_lo:[0,1] neg_hi:[0,1]
	v_pk_add_f16 v43, v43, v48
	v_sub_f16_sdwa v48, v14, v13 dst_sel:DWORD dst_unused:UNUSED_PAD src0_sel:WORD_1 src1_sel:WORD_1
	v_sub_f16_sdwa v49, v15, v20 dst_sel:DWORD dst_unused:UNUSED_PAD src0_sel:WORD_1 src1_sel:WORD_1
	v_add_f16_e32 v48, v48, v49
	v_pk_add_f16 v49, v13, v14 neg_lo:[0,1] neg_hi:[0,1]
	v_pk_add_f16 v53, v20, v15 neg_lo:[0,1] neg_hi:[0,1]
	v_pk_add_f16 v49, v49, v53
	v_pk_add_f16 v53, v14, v15
	v_pk_add_f16 v54, v13, v20 neg_lo:[0,1] neg_hi:[0,1]
	v_pk_fma_f16 v53, v53, 0.5, v41 op_sel_hi:[1,0,1] neg_lo:[1,0,0] neg_hi:[1,0,0]
	v_pk_mul_f16 v55, v54, s9 op_sel_hi:[1,0]
	v_pk_add_f16 v56, v55, v53 op_sel:[1,0] op_sel_hi:[0,1]
	v_pk_add_f16 v53, v53, v55 op_sel:[0,1] op_sel_hi:[1,0] neg_lo:[0,1] neg_hi:[0,1]
	v_pk_add_f16 v55, v14, v15 neg_lo:[0,1] neg_hi:[0,1]
	v_pk_mul_f16 v57, v55, s14 op_sel_hi:[1,0]
	v_pk_add_f16 v56, v56, v57 op_sel:[0,1] op_sel_hi:[1,0] neg_lo:[0,1] neg_hi:[0,1]
	v_pk_add_f16 v53, v57, v53 op_sel:[1,0] op_sel_hi:[0,1]
	v_pk_fma_f16 v56, v49, s6, v56 op_sel_hi:[1,0,1]
	v_pk_fma_f16 v53, v49, s6, v53 op_sel_hi:[1,0,1]
	v_mul_f16_e32 v49, 0x34f2, v53
	v_lshrrev_b32_e32 v57, 16, v56
	v_fma_f16 v49, v57, s9, v49
	v_mul_f16_e32 v57, 0x34f2, v56
	v_lshrrev_b32_e32 v59, 16, v53
	v_sub_f16_e32 v42, v42, v51
	v_fma_f16 v57, v59, s9, -v57
	v_pack_b32_f16 v0, v42, v0
	ds_write_b32 v63, v0 offset:16
	v_add_f16_e32 v0, v47, v49
	v_add_f16_e32 v42, v8, v57
	v_pack_b32_f16 v0, v0, v42
	v_add_f16_e32 v42, v21, v10
	v_fma_f16 v42, v42, -0.5, v29
	v_add_f16_e32 v29, v29, v22
	v_add_f16_e32 v29, v29, v21
	;; [unrolled: 1-line block ×4, first 2 shown]
	v_fma_f16 v29, v44, s9, v42
	v_fma_f16 v29, v46, s14, v29
	;; [unrolled: 1-line block ×3, first 2 shown]
	v_add_f16_e32 v29, v41, v14
	v_add_f16_e32 v29, v29, v13
	;; [unrolled: 1-line block ×5, first 2 shown]
	v_fma_f16 v62, v29, -0.5, v41
	v_bfi_b32 v29, s0, v43, v54
	v_lshrrev_b32_e32 v64, 16, v55
	v_pk_mul_f16 v43, v29, s1
	v_fma_f16 v29, v64, s9, v62
	v_add_f16_sdwa v29, v43, v29 dst_sel:DWORD dst_unused:UNUSED_PAD src0_sel:WORD_1 src1_sel:DWORD
	v_add_f16_e32 v65, v43, v29
	v_lshrrev_b32_e32 v66, 16, v41
	v_add_f16_sdwa v29, v13, v20 dst_sel:DWORD dst_unused:UNUSED_PAD src0_sel:WORD_1 src1_sel:WORD_1
	v_fma_f16 v41, v29, -0.5, v66
	v_fma_f16 v29, v55, s7, v41
	v_fma_f16 v29, v54, s8, v29
	;; [unrolled: 1-line block ×3, first 2 shown]
	v_mul_f16_e32 v29, 0x38b4, v67
	v_fma_f16 v68, v65, s15, v29
	v_add_f16_e32 v29, v51, v61
	v_add_f16_e32 v69, v59, v68
	v_pack_b32_f16 v69, v29, v69
	v_mul_i32_i24_e32 v29, 10, v26
	v_lshl_add_u32 v29, v29, 1, 0
	ds_write2_b32 v29, v69, v0 offset1:1
	v_fma_f16 v0, v44, s7, v42
	v_fma_f16 v0, v46, s8, v0
	;; [unrolled: 1-line block ×4, first 2 shown]
	v_sub_f16_sdwa v2, v2, v43 dst_sel:DWORD dst_unused:UNUSED_PAD src0_sel:DWORD src1_sel:WORD_1
	v_add_f16_e32 v62, v43, v2
	v_fma_f16 v2, v55, s9, v41
	v_fma_f16 v2, v54, s14, v2
	v_sub_f16_e32 v41, v59, v68
	v_sub_f16_e32 v42, v47, v49
	v_fma_f16 v54, v48, s6, v2
	v_pack_b32_f16 v41, v41, v42
	v_mul_f16_e32 v42, 0x3a79, v62
	v_fma_f16 v42, v54, s14, -v42
	v_sub_f16_e32 v2, v51, v61
	v_add_f16_e32 v43, v0, v42
	v_pack_b32_f16 v2, v43, v2
	ds_write2_b32 v29, v2, v41 offset0:2 offset1:3
	v_sub_f16_e32 v3, v6, v3
	v_sub_f16_e32 v2, v32, v33
	;; [unrolled: 1-line block ×3, first 2 shown]
	v_add_f16_e32 v55, v2, v6
	v_add_f16_e32 v6, v31, v32
	;; [unrolled: 1-line block ×4, first 2 shown]
	v_sub_f16_e32 v51, v7, v11
	v_add_f16_e32 v2, v33, v39
	v_sub_f16_e32 v7, v33, v32
	v_add_f16_e32 v61, v6, v40
	v_sub_f16_e32 v6, v39, v40
	v_fma_f16 v59, v2, -0.5, v31
	v_add_f16_e32 v2, v32, v40
	v_add_f16_e32 v6, v7, v6
	v_add_f16_sdwa v7, v30, v9 dst_sel:DWORD dst_unused:UNUSED_PAD src0_sel:DWORD src1_sel:WORD_1
	v_fma_f16 v2, v2, -0.5, v31
	v_add_f16_sdwa v5, v7, v5 dst_sel:DWORD dst_unused:UNUSED_PAD src0_sel:DWORD src1_sel:WORD_1
	v_add_f16_sdwa v4, v5, v4 dst_sel:DWORD dst_unused:UNUSED_PAD src0_sel:DWORD src1_sel:WORD_1
	v_mul_f16_e32 v5, 0xb8b4, v58
	v_fma_f16 v7, v3, s9, v2
	v_fma_f16 v2, v3, s7, v2
	;; [unrolled: 1-line block ×7, first 2 shown]
	v_mul_f16_e32 v6, 0x34f2, v6
	v_pack_b32_f16 v2, v2, v7
	s_mov_b32 s17, 0x34f23b9c
	v_fma_f16 v60, v55, s6, v5
	v_sub_f16_e32 v5, v8, v57
	v_pk_add_f16 v57, v6, v2 op_sel_hi:[0,1]
	s_mov_b32 s16, 0x34f2bb9c
	v_pk_mul_f16 v6, v45, s17
	v_add_f16_sdwa v4, v4, v12 dst_sel:DWORD dst_unused:UNUSED_PAD src0_sel:DWORD src1_sel:WORD_1
	v_sub_f16_e32 v0, v0, v42
	v_pk_fma_f16 v64, v50, s16, v6 op_sel:[0,0,1] op_sel_hi:[1,1,0] neg_lo:[0,0,1] neg_hi:[0,0,1]
	v_add_f16_e32 v7, v61, v4
	v_add_f16_e32 v2, v60, v58
	s_movk_i32 s1, 0xffee
	v_pack_b32_f16 v0, v5, v0
	v_pk_add_f16 v68, v57, v64
	ds_write_b32 v29, v0 offset:16
	v_pack_b32_f16 v0, v7, v2
	v_mad_i32_i24 v33, v26, s1, v29
	v_alignbit_b32 v68, v68, v68, 16
	s_load_dwordx2 s[4:5], s[4:5], 0x0
	v_mad_i32_i24 v30, v24, s1, v63
	v_lshl_add_u32 v31, v25, 1, 0
	v_lshl_add_u32 v32, v27, 1, 0
	s_waitcnt lgkmcnt(0)
	s_barrier
	ds_read_u16 v2, v33
	ds_read_u16 v5, v30
	ds_read_u16 v41, v30 offset:1200
	ds_read_u16 v45, v30 offset:4000
	;; [unrolled: 1-line block ×15, first 2 shown]
	ds_read_u16 v49, v32
	ds_read_u16 v50, v31
	ds_read_u16 v8, v30 offset:7600
	s_waitcnt lgkmcnt(0)
	s_barrier
	ds_write2_b32 v63, v0, v68 offset1:1
	v_fma_f16 v0, v51, s9, v59
	v_fma_f16 v0, v3, s14, v0
	v_mul_f16_e32 v3, 0x3a79, v52
	v_fma_f16 v0, v55, s6, v0
	v_fma_f16 v1, v1, s8, -v3
	v_sub_f16_e32 v3, v61, v4
	v_bfi_b32 v4, s0, v60, v57
	v_bfi_b32 v51, s0, v58, v64
	v_pk_add_f16 v4, v4, v51 neg_lo:[0,1] neg_hi:[0,1]
	v_add_f16_e32 v51, v0, v1
	v_pack_b32_f16 v3, v51, v3
	ds_write2_b32 v63, v3, v4 offset0:2 offset1:3
	v_sub_f16_e32 v3, v21, v10
	v_sub_f16_e32 v4, v34, v35
	;; [unrolled: 1-line block ×3, first 2 shown]
	v_add_f16_e32 v4, v4, v10
	v_add_f16_e32 v10, v35, v36
	v_sub_f16_e32 v0, v0, v1
	v_sub_f16_e32 v1, v22, v38
	v_fma_f16 v10, v10, -0.5, v23
	v_fma_f16 v21, v1, s7, v10
	v_fma_f16 v10, v1, s9, v10
	;; [unrolled: 1-line block ×6, first 2 shown]
	v_add_f16_e32 v10, v34, v37
	v_fma_f16 v10, v10, -0.5, v23
	v_add_f16_e32 v22, v23, v34
	v_sub_f16_e32 v23, v35, v34
	v_sub_f16_e32 v34, v36, v37
	v_add_f16_e32 v23, v23, v34
	v_fma_f16 v34, v3, s9, v10
	v_fma_f16 v3, v3, s7, v10
	;; [unrolled: 1-line block ×4, first 2 shown]
	v_add_f16_sdwa v3, v66, v14 dst_sel:DWORD dst_unused:UNUSED_PAD src0_sel:DWORD src1_sel:WORD_1
	v_mul_f16_e32 v14, 0x3a79, v54
	v_add_f16_e32 v22, v22, v35
	v_add_f16_sdwa v3, v3, v13 dst_sel:DWORD dst_unused:UNUSED_PAD src0_sel:DWORD src1_sel:WORD_1
	v_fma_f16 v14, v62, s8, -v14
	v_add_f16_e32 v22, v22, v36
	v_add_f16_sdwa v3, v3, v20 dst_sel:DWORD dst_unused:UNUSED_PAD src0_sel:DWORD src1_sel:WORD_1
	v_mul_f16_e32 v13, 0xb8b4, v65
	v_add_f16_e32 v20, v4, v14
	v_sub_f16_e32 v4, v4, v14
	v_pack_b32_f16 v1, v1, v10
	v_mul_f16_e32 v10, 0x34f2, v23
	v_pk_mul_f16 v14, v53, s17
	v_add_f16_e32 v22, v22, v37
	v_add_f16_sdwa v3, v3, v15 dst_sel:DWORD dst_unused:UNUSED_PAD src0_sel:DWORD src1_sel:WORD_1
	v_fma_f16 v13, v67, s15, v13
	v_pk_add_f16 v1, v10, v1 op_sel_hi:[0,1]
	v_pk_fma_f16 v14, v56, s16, v14 op_sel:[0,0,1] op_sel_hi:[1,1,0] neg_lo:[0,0,1] neg_hi:[0,0,1]
	v_sub_f16_e32 v23, v57, v64
	v_add_f16_e32 v15, v22, v3
	v_sub_f16_e32 v3, v22, v3
	v_add_f16_e32 v10, v21, v13
	v_pk_add_f16 v22, v1, v14
	v_pack_b32_f16 v0, v23, v0
	ds_write_b32 v63, v0 offset:16
	v_alignbit_b32 v0, v22, v22, 16
	v_pack_b32_f16 v10, v15, v10
	v_sub_f16_e32 v34, v1, v14
	ds_write2_b32 v29, v10, v0 offset1:1
	v_bfi_b32 v0, s0, v21, v1
	v_bfi_b32 v1, s0, v13, v14
	v_pk_add_f16 v0, v0, v1 neg_lo:[0,1] neg_hi:[0,1]
	v_pack_b32_f16 v1, v20, v3
	ds_write2_b32 v29, v1, v0 offset0:2 offset1:3
	v_pack_b32_f16 v0, v34, v4
	s_movk_i32 s0, 0xcd
	ds_write_b32 v29, v0 offset:16
	v_mul_lo_u16_sdwa v0, v24, s0 dst_sel:DWORD dst_unused:UNUSED_PAD src0_sel:BYTE_0 src1_sel:DWORD
	v_lshrrev_b16_e32 v0, 11, v0
	v_mul_lo_u16_e32 v1, 10, v0
	v_sub_u16_e32 v1, v24, v1
	v_mov_b32_e32 v3, 9
	v_mul_u32_u24_sdwa v3, v1, v3 dst_sel:DWORD dst_unused:UNUSED_PAD src0_sel:BYTE_0 src1_sel:DWORD
	v_lshlrev_b32_e32 v10, 2, v3
	s_waitcnt lgkmcnt(0)
	s_barrier
	global_load_dwordx4 v[20:23], v10, s[12:13]
	global_load_dwordx4 v[34:37], v10, s[12:13] offset:16
	s_mov_b32 s0, 0xcccd
	v_mul_u32_u24_sdwa v3, v26, s0 dst_sel:DWORD dst_unused:UNUSED_PAD src0_sel:WORD_0 src1_sel:DWORD
	v_lshrrev_b32_e32 v3, 19, v3
	v_mul_lo_u16_e32 v4, 10, v3
	v_sub_u16_e32 v4, v26, v4
	v_mul_u32_u24_e32 v13, 9, v4
	v_lshlrev_b32_e32 v13, 2, v13
	global_load_dwordx4 v[51:54], v13, s[12:13]
	global_load_dwordx4 v[55:58], v13, s[12:13] offset:16
	ds_read_u16 v14, v31
	ds_read_u16 v15, v32
	;; [unrolled: 1-line block ×3, first 2 shown]
	ds_read_u16 v59, v30 offset:7600
	global_load_dword v10, v10, s[12:13] offset:32
	v_mul_u32_u24_e32 v0, 0xc8, v0
	global_load_dword v13, v13, s[12:13] offset:32
	s_movk_i32 s0, 0x64
	v_cmp_gt_u32_e64 s[0:1], s0, v24
	s_waitcnt vmcnt(5) lgkmcnt(3)
	v_mul_f16_sdwa v60, v14, v20 dst_sel:DWORD dst_unused:UNUSED_PAD src0_sel:DWORD src1_sel:WORD_1
	v_fma_f16 v60, v50, v20, -v60
	v_mul_f16_sdwa v50, v50, v20 dst_sel:DWORD dst_unused:UNUSED_PAD src0_sel:DWORD src1_sel:WORD_1
	v_fma_f16 v14, v14, v20, v50
	ds_read_u16 v50, v30 offset:2400
	s_waitcnt lgkmcnt(3)
	v_mul_f16_sdwa v20, v15, v21 dst_sel:DWORD dst_unused:UNUSED_PAD src0_sel:DWORD src1_sel:WORD_1
	v_fma_f16 v20, v49, v21, -v20
	v_mul_f16_sdwa v49, v49, v21 dst_sel:DWORD dst_unused:UNUSED_PAD src0_sel:DWORD src1_sel:WORD_1
	v_fma_f16 v15, v15, v21, v49
	ds_read_u16 v21, v30 offset:4000
	ds_read_u16 v49, v30 offset:3600
	;; [unrolled: 1-line block ×5, first 2 shown]
	s_waitcnt lgkmcnt(5)
	v_mul_f16_sdwa v64, v50, v22 dst_sel:DWORD dst_unused:UNUSED_PAD src0_sel:DWORD src1_sel:WORD_1
	v_fma_f16 v64, v48, v22, -v64
	v_mul_f16_sdwa v48, v48, v22 dst_sel:DWORD dst_unused:UNUSED_PAD src0_sel:DWORD src1_sel:WORD_1
	v_fma_f16 v22, v50, v22, v48
	s_waitcnt lgkmcnt(2)
	v_mul_f16_sdwa v48, v61, v23 dst_sel:DWORD dst_unused:UNUSED_PAD src0_sel:DWORD src1_sel:WORD_1
	v_fma_f16 v48, v47, v23, -v48
	v_mul_f16_sdwa v47, v47, v23 dst_sel:DWORD dst_unused:UNUSED_PAD src0_sel:DWORD src1_sel:WORD_1
	v_fma_f16 v23, v61, v23, v47
	ds_read_u16 v47, v30 offset:4800
	s_waitcnt vmcnt(4)
	v_mul_f16_sdwa v50, v21, v34 dst_sel:DWORD dst_unused:UNUSED_PAD src0_sel:DWORD src1_sel:WORD_1
	v_fma_f16 v50, v45, v34, -v50
	v_mul_f16_sdwa v45, v45, v34 dst_sel:DWORD dst_unused:UNUSED_PAD src0_sel:DWORD src1_sel:WORD_1
	v_fma_f16 v21, v21, v34, v45
	ds_read_u16 v34, v30 offset:6800
	ds_read_u16 v45, v30 offset:7200
	;; [unrolled: 1-line block ×7, first 2 shown]
	s_waitcnt lgkmcnt(7)
	v_mul_f16_sdwa v69, v47, v35 dst_sel:DWORD dst_unused:UNUSED_PAD src0_sel:DWORD src1_sel:WORD_1
	v_fma_f16 v69, v46, v35, -v69
	v_mul_f16_sdwa v46, v46, v35 dst_sel:DWORD dst_unused:UNUSED_PAD src0_sel:DWORD src1_sel:WORD_1
	v_fma_f16 v35, v47, v35, v46
	ds_read_u16 v47, v30 offset:1200
	s_waitcnt lgkmcnt(3)
	v_mul_f16_sdwa v46, v66, v36 dst_sel:DWORD dst_unused:UNUSED_PAD src0_sel:DWORD src1_sel:WORD_1
	v_fma_f16 v46, v44, v36, -v46
	v_mul_f16_sdwa v44, v44, v36 dst_sel:DWORD dst_unused:UNUSED_PAD src0_sel:DWORD src1_sel:WORD_1
	v_fma_f16 v36, v66, v36, v44
	v_mul_f16_sdwa v44, v61, v37 dst_sel:DWORD dst_unused:UNUSED_PAD src0_sel:DWORD src1_sel:WORD_1
	v_fma_f16 v44, v43, v37, -v44
	v_mul_f16_sdwa v43, v43, v37 dst_sel:DWORD dst_unused:UNUSED_PAD src0_sel:DWORD src1_sel:WORD_1
	v_fma_f16 v37, v61, v37, v43
	ds_read_u16 v43, v30
	s_waitcnt vmcnt(3) lgkmcnt(1)
	v_mul_f16_sdwa v61, v47, v51 dst_sel:DWORD dst_unused:UNUSED_PAD src0_sel:DWORD src1_sel:WORD_1
	v_fma_f16 v61, v41, v51, -v61
	v_mul_f16_sdwa v41, v41, v51 dst_sel:DWORD dst_unused:UNUSED_PAD src0_sel:DWORD src1_sel:WORD_1
	v_fma_f16 v41, v47, v51, v41
	v_mul_f16_sdwa v47, v63, v52 dst_sel:DWORD dst_unused:UNUSED_PAD src0_sel:DWORD src1_sel:WORD_1
	v_fma_f16 v47, v42, v52, -v47
	v_mul_f16_sdwa v42, v42, v52 dst_sel:DWORD dst_unused:UNUSED_PAD src0_sel:DWORD src1_sel:WORD_1
	v_fma_f16 v42, v63, v52, v42
	;; [unrolled: 4-line block ×3, first 2 shown]
	s_waitcnt vmcnt(2)
	v_mul_f16_sdwa v49, v68, v55 dst_sel:DWORD dst_unused:UNUSED_PAD src0_sel:DWORD src1_sel:WORD_1
	v_fma_f16 v49, v40, v55, -v49
	v_mul_f16_sdwa v40, v40, v55 dst_sel:DWORD dst_unused:UNUSED_PAD src0_sel:DWORD src1_sel:WORD_1
	v_fma_f16 v40, v68, v55, v40
	v_mul_f16_sdwa v55, v34, v58 dst_sel:DWORD dst_unused:UNUSED_PAD src0_sel:DWORD src1_sel:WORD_1
	v_fma_f16 v55, v7, v58, -v55
	v_mul_f16_sdwa v7, v7, v58 dst_sel:DWORD dst_unused:UNUSED_PAD src0_sel:DWORD src1_sel:WORD_1
	v_fma_f16 v7, v34, v58, v7
	s_waitcnt vmcnt(1)
	v_mul_f16_sdwa v34, v45, v10 dst_sel:DWORD dst_unused:UNUSED_PAD src0_sel:DWORD src1_sel:WORD_1
	v_fma_f16 v34, v6, v10, -v34
	v_mul_f16_sdwa v6, v6, v10 dst_sel:DWORD dst_unused:UNUSED_PAD src0_sel:DWORD src1_sel:WORD_1
	v_mul_f16_sdwa v51, v62, v53 dst_sel:DWORD dst_unused:UNUSED_PAD src0_sel:DWORD src1_sel:WORD_1
	v_fma_f16 v6, v45, v10, v6
	s_waitcnt vmcnt(0)
	v_mul_f16_sdwa v10, v59, v13 dst_sel:DWORD dst_unused:UNUSED_PAD src0_sel:DWORD src1_sel:WORD_1
	v_fma_f16 v51, v39, v53, -v51
	v_mul_f16_sdwa v39, v39, v53 dst_sel:DWORD dst_unused:UNUSED_PAD src0_sel:DWORD src1_sel:WORD_1
	v_fma_f16 v10, v8, v13, -v10
	v_mul_f16_sdwa v8, v8, v13 dst_sel:DWORD dst_unused:UNUSED_PAD src0_sel:DWORD src1_sel:WORD_1
	v_fma_f16 v39, v62, v53, v39
	v_mul_f16_sdwa v53, v67, v56 dst_sel:DWORD dst_unused:UNUSED_PAD src0_sel:DWORD src1_sel:WORD_1
	v_fma_f16 v8, v59, v13, v8
	v_sub_f16_e32 v13, v20, v48
	v_sub_f16_e32 v45, v44, v69
	v_fma_f16 v53, v12, v56, -v53
	v_mul_f16_sdwa v12, v12, v56 dst_sel:DWORD dst_unused:UNUSED_PAD src0_sel:DWORD src1_sel:WORD_1
	v_mul_f16_sdwa v54, v65, v57 dst_sel:DWORD dst_unused:UNUSED_PAD src0_sel:DWORD src1_sel:WORD_1
	v_add_f16_e32 v13, v13, v45
	v_add_f16_e32 v45, v48, v69
	v_fma_f16 v12, v67, v56, v12
	v_fma_f16 v54, v9, v57, -v54
	v_mul_f16_sdwa v9, v9, v57 dst_sel:DWORD dst_unused:UNUSED_PAD src0_sel:DWORD src1_sel:WORD_1
	v_fma_f16 v45, v45, -0.5, v5
	v_sub_f16_e32 v56, v15, v37
	v_fma_f16 v9, v65, v57, v9
	v_fma_f16 v57, v56, s9, v45
	v_sub_f16_e32 v58, v23, v35
	v_fma_f16 v45, v56, s7, v45
	v_fma_f16 v57, v58, s14, v57
	;; [unrolled: 1-line block ×5, first 2 shown]
	v_sub_f16_e32 v45, v48, v20
	v_sub_f16_e32 v59, v69, v44
	v_add_f16_e32 v45, v45, v59
	v_add_f16_e32 v59, v20, v44
	v_fma_f16 v59, v59, -0.5, v5
	v_add_f16_e32 v5, v5, v20
	v_fma_f16 v62, v58, s7, v59
	v_fma_f16 v58, v58, s9, v59
	v_add_f16_e32 v5, v5, v48
	v_fma_f16 v59, v56, s14, v62
	v_fma_f16 v56, v56, s8, v58
	;; [unrolled: 3-line block ×3, first 2 shown]
	v_add_f16_e32 v5, v5, v44
	v_sub_f16_e32 v20, v20, v44
	v_sub_f16_e32 v44, v48, v69
	;; [unrolled: 1-line block ×4, first 2 shown]
	v_add_f16_e32 v48, v48, v56
	v_add_f16_e32 v56, v23, v35
	s_waitcnt lgkmcnt(0)
	v_fma_f16 v56, v56, -0.5, v43
	v_fma_f16 v59, v20, s7, v56
	v_fma_f16 v56, v20, s9, v56
	;; [unrolled: 1-line block ×6, first 2 shown]
	v_add_f16_e32 v56, v15, v37
	v_fma_f16 v56, v56, -0.5, v43
	v_add_f16_e32 v43, v43, v15
	v_add_f16_e32 v43, v43, v23
	v_sub_f16_e32 v15, v23, v15
	v_add_f16_e32 v23, v43, v35
	v_sub_f16_e32 v35, v35, v37
	v_add_f16_e32 v23, v23, v37
	v_add_f16_e32 v15, v15, v35
	v_fma_f16 v35, v44, s9, v56
	v_fma_f16 v37, v44, s7, v56
	;; [unrolled: 1-line block ×6, first 2 shown]
	v_sub_f16_e32 v20, v64, v50
	v_sub_f16_e32 v37, v34, v46
	v_add_f16_e32 v20, v20, v37
	v_add_f16_e32 v37, v50, v46
	v_fma_f16 v37, v37, -0.5, v60
	v_sub_f16_e32 v43, v22, v6
	v_fma_f16 v44, v43, s9, v37
	v_sub_f16_e32 v56, v21, v36
	v_fma_f16 v37, v43, s7, v37
	v_fma_f16 v44, v56, s14, v44
	;; [unrolled: 1-line block ×5, first 2 shown]
	v_sub_f16_e32 v37, v50, v64
	v_sub_f16_e32 v62, v46, v34
	v_add_f16_e32 v37, v37, v62
	v_add_f16_e32 v62, v64, v34
	v_fma_f16 v62, v62, -0.5, v60
	v_fma_f16 v63, v56, s7, v62
	v_fma_f16 v56, v56, s9, v62
	;; [unrolled: 1-line block ×6, first 2 shown]
	v_add_f16_e32 v43, v60, v64
	v_add_f16_e32 v43, v43, v50
	;; [unrolled: 1-line block ×3, first 2 shown]
	v_sub_f16_e32 v46, v50, v46
	v_sub_f16_e32 v50, v22, v21
	;; [unrolled: 1-line block ×3, first 2 shown]
	v_add_f16_e32 v50, v50, v60
	v_add_f16_e32 v60, v21, v36
	;; [unrolled: 1-line block ×3, first 2 shown]
	v_sub_f16_e32 v34, v64, v34
	v_fma_f16 v60, v60, -0.5, v14
	v_fma_f16 v62, v34, s7, v60
	v_fma_f16 v60, v34, s9, v60
	;; [unrolled: 1-line block ×6, first 2 shown]
	v_add_f16_e32 v60, v22, v6
	v_fma_f16 v60, v60, -0.5, v14
	v_add_f16_e32 v14, v14, v22
	v_add_f16_e32 v14, v14, v21
	;; [unrolled: 1-line block ×3, first 2 shown]
	v_sub_f16_e32 v21, v21, v22
	v_add_f16_e32 v14, v14, v6
	v_sub_f16_e32 v6, v36, v6
	v_add_f16_e32 v6, v21, v6
	v_fma_f16 v21, v46, s9, v60
	v_fma_f16 v22, v46, s7, v60
	;; [unrolled: 1-line block ×6, first 2 shown]
	v_mul_f16_e32 v22, 0x38b4, v62
	v_fma_f16 v22, v44, s15, v22
	v_mul_f16_e32 v34, 0xb8b4, v44
	v_mul_f16_e32 v44, 0xbb9c, v56
	;; [unrolled: 1-line block ×3, first 2 shown]
	v_fma_f16 v21, v21, s6, v44
	v_mul_f16_e32 v44, 0x34f2, v37
	v_fma_f16 v44, v6, s9, -v44
	v_mul_f16_e32 v6, 0x34f2, v6
	v_fma_f16 v6, v37, s7, -v6
	v_mul_f16_e32 v37, 0x3a79, v20
	v_fma_f16 v34, v62, s15, v34
	v_fma_f16 v36, v56, s6, v36
	v_fma_f16 v37, v50, s14, -v37
	v_mul_f16_e32 v46, 0x3a79, v50
	v_fma_f16 v20, v20, s8, -v46
	v_add_f16_e32 v46, v5, v43
	v_sub_f16_e32 v5, v5, v43
	v_add_f16_e32 v43, v57, v22
	v_sub_f16_e32 v22, v57, v22
	;; [unrolled: 2-line block ×7, first 2 shown]
	v_sub_f16_e32 v34, v47, v52
	v_sub_f16_e32 v37, v55, v53
	v_add_f16_e32 v34, v34, v37
	v_add_f16_e32 v37, v52, v53
	;; [unrolled: 1-line block ×3, first 2 shown]
	v_sub_f16_e32 v21, v35, v21
	v_add_f16_e32 v35, v15, v6
	v_sub_f16_e32 v6, v15, v6
	v_add_f16_e32 v15, v48, v20
	v_sub_f16_e32 v20, v48, v20
	v_fma_f16 v37, v37, -0.5, v2
	v_sub_f16_e32 v48, v42, v7
	v_fma_f16 v60, v48, s9, v37
	v_sub_f16_e32 v62, v11, v12
	v_fma_f16 v37, v48, s7, v37
	v_fma_f16 v60, v62, s14, v60
	;; [unrolled: 1-line block ×5, first 2 shown]
	v_sub_f16_e32 v37, v52, v47
	v_sub_f16_e32 v63, v53, v55
	v_add_f16_e32 v37, v37, v63
	v_add_f16_e32 v63, v47, v55
	v_fma_f16 v63, v63, -0.5, v2
	v_fma_f16 v64, v62, s7, v63
	v_fma_f16 v62, v62, s9, v63
	v_add_f16_e32 v2, v2, v47
	v_fma_f16 v63, v48, s14, v64
	v_fma_f16 v48, v48, s8, v62
	v_add_f16_e32 v2, v2, v52
	;; [unrolled: 3-line block ×3, first 2 shown]
	v_sub_f16_e32 v48, v52, v53
	v_sub_f16_e32 v52, v42, v11
	v_sub_f16_e32 v53, v7, v12
	v_add_f16_e32 v52, v52, v53
	v_add_f16_e32 v53, v11, v12
	v_sub_f16_e32 v47, v47, v55
	v_fma_f16 v53, v53, -0.5, v38
	v_add_f16_e32 v2, v2, v55
	v_fma_f16 v55, v47, s7, v53
	v_fma_f16 v53, v47, s9, v53
	v_fma_f16 v55, v48, s8, v55
	v_fma_f16 v53, v48, s14, v53
	v_fma_f16 v55, v52, s6, v55
	v_fma_f16 v52, v52, s6, v53
	v_add_f16_e32 v53, v42, v7
	v_fma_f16 v53, v53, -0.5, v38
	v_add_f16_e32 v38, v38, v42
	v_add_f16_e32 v38, v38, v11
	;; [unrolled: 1-line block ×3, first 2 shown]
	v_sub_f16_e32 v11, v11, v42
	v_add_f16_e32 v38, v38, v7
	v_sub_f16_e32 v7, v12, v7
	v_add_f16_e32 v7, v11, v7
	v_fma_f16 v11, v48, s9, v53
	v_fma_f16 v12, v48, s7, v53
	v_fma_f16 v11, v47, s8, v11
	v_fma_f16 v12, v47, s14, v12
	v_fma_f16 v11, v7, s6, v11
	v_fma_f16 v7, v7, s6, v12
	v_sub_f16_e32 v12, v51, v49
	v_sub_f16_e32 v42, v10, v54
	v_add_f16_e32 v12, v12, v42
	v_add_f16_e32 v42, v49, v54
	v_fma_f16 v42, v42, -0.5, v61
	v_sub_f16_e32 v47, v39, v8
	v_fma_f16 v48, v47, s9, v42
	v_sub_f16_e32 v53, v40, v9
	v_fma_f16 v42, v47, s7, v42
	v_fma_f16 v48, v53, s14, v48
	;; [unrolled: 1-line block ×5, first 2 shown]
	v_sub_f16_e32 v42, v49, v51
	v_sub_f16_e32 v63, v54, v10
	v_add_f16_e32 v42, v42, v63
	v_add_f16_e32 v63, v51, v10
	v_fma_f16 v63, v63, -0.5, v61
	v_fma_f16 v64, v53, s7, v63
	v_fma_f16 v53, v53, s9, v63
	;; [unrolled: 1-line block ×6, first 2 shown]
	v_add_f16_e32 v47, v61, v51
	v_add_f16_e32 v47, v47, v49
	;; [unrolled: 1-line block ×4, first 2 shown]
	v_sub_f16_e32 v10, v51, v10
	v_sub_f16_e32 v49, v49, v54
	;; [unrolled: 1-line block ×4, first 2 shown]
	v_add_f16_e32 v51, v51, v54
	v_add_f16_e32 v54, v40, v9
	v_fma_f16 v54, v54, -0.5, v41
	v_fma_f16 v61, v10, s7, v54
	v_fma_f16 v54, v10, s9, v54
	;; [unrolled: 1-line block ×6, first 2 shown]
	v_add_f16_e32 v54, v39, v8
	v_fma_f16 v54, v54, -0.5, v41
	v_add_f16_e32 v41, v41, v39
	v_add_f16_e32 v41, v41, v40
	v_sub_f16_e32 v39, v40, v39
	v_add_f16_e32 v40, v41, v9
	v_add_f16_e32 v40, v40, v8
	v_sub_f16_e32 v8, v9, v8
	v_add_f16_e32 v8, v39, v8
	v_fma_f16 v9, v49, s9, v54
	v_fma_f16 v39, v49, s7, v54
	;; [unrolled: 1-line block ×6, first 2 shown]
	v_mul_f16_e32 v10, 0x38b4, v61
	v_fma_f16 v10, v48, s15, v10
	v_mul_f16_e32 v39, 0xb8b4, v48
	v_mul_f16_e32 v48, 0xbb9c, v53
	;; [unrolled: 1-line block ×3, first 2 shown]
	v_fma_f16 v9, v9, s6, v48
	v_mul_f16_e32 v48, 0x34f2, v42
	v_fma_f16 v48, v8, s9, -v48
	v_mul_f16_e32 v8, 0x34f2, v8
	v_mul_f16_e32 v49, 0x3a79, v51
	v_fma_f16 v39, v61, s15, v39
	v_fma_f16 v8, v42, s7, -v8
	v_mul_f16_e32 v42, 0x3a79, v12
	v_fma_f16 v12, v12, s8, -v49
	v_add_f16_e32 v49, v2, v47
	v_sub_f16_e32 v2, v2, v47
	v_add_f16_e32 v47, v60, v10
	v_sub_f16_e32 v10, v60, v10
	;; [unrolled: 2-line block ×3, first 2 shown]
	v_mov_b32_e32 v38, 1
	v_lshlrev_b32_sdwa v1, v38, v1 dst_sel:DWORD dst_unused:UNUSED_PAD src0_sel:DWORD src1_sel:BYTE_0
	v_fma_f16 v41, v53, s6, v41
	v_fma_f16 v42, v51, s14, -v42
	v_add3_u32 v0, 0, v0, v1
	v_mul_u32_u24_e32 v1, 0xc8, v3
	v_lshlrev_b32_e32 v3, 1, v4
	v_add_f16_e32 v51, v62, v41
	v_sub_f16_e32 v41, v62, v41
	v_add_f16_e32 v53, v37, v48
	v_sub_f16_e32 v37, v37, v48
	;; [unrolled: 2-line block ×3, first 2 shown]
	v_add3_u32 v1, 0, v1, v3
	v_add_f16_e32 v62, v55, v39
	v_sub_f16_e32 v63, v55, v39
	v_add_f16_e32 v64, v11, v9
	v_sub_f16_e32 v9, v11, v9
	;; [unrolled: 2-line block ×4, first 2 shown]
	s_barrier
	ds_write_b16 v0, v46
	ds_write_b16 v0, v43 offset:20
	ds_write_b16 v0, v50 offset:40
	;; [unrolled: 1-line block ×9, first 2 shown]
	ds_write_b16 v1, v49
	ds_write_b16 v1, v47 offset:20
	ds_write_b16 v1, v51 offset:40
	;; [unrolled: 1-line block ×9, first 2 shown]
	s_waitcnt lgkmcnt(0)
	s_barrier
	ds_read_u16 v34, v33
	ds_read_u16 v37, v30
	ds_read_u16 v45, v30 offset:1200
	ds_read_u16 v49, v30 offset:4000
	;; [unrolled: 1-line block ×15, first 2 shown]
	ds_read_u16 v54, v32
	ds_read_u16 v55, v31
	ds_read_u16 v40, v30 offset:7600
	s_waitcnt lgkmcnt(0)
	s_barrier
	ds_write_b16 v0, v57
	ds_write_b16 v0, v23 offset:20
	ds_write_b16 v0, v59 offset:40
	;; [unrolled: 1-line block ×9, first 2 shown]
	ds_write_b16 v1, v60
	ds_write_b16 v1, v62 offset:20
	ds_write_b16 v1, v64 offset:40
	;; [unrolled: 1-line block ×9, first 2 shown]
	v_add_u32_e32 v0, 0xffffff9c, v24
	v_cndmask_b32_e64 v35, v0, v24, s[0:1]
	v_mul_i32_i24_e32 v20, 9, v35
	v_mov_b32_e32 v21, 0
	v_lshlrev_b64 v[0:1], 2, v[20:21]
	v_mov_b32_e32 v2, s13
	v_add_co_u32_e64 v22, s[0:1], s12, v0
	v_addc_co_u32_e64 v23, s[0:1], v2, v1, s[0:1]
	s_waitcnt lgkmcnt(0)
	s_barrier
	global_load_dwordx4 v[4:7], v[22:23], off offset:360
	global_load_dwordx4 v[0:3], v[22:23], off offset:376
	v_lshrrev_b16_e32 v8, 2, v26
	v_mul_u32_u24_e32 v8, 0x147b, v8
	v_lshrrev_b32_e32 v20, 17, v8
	v_mul_lo_u16_e32 v8, 0x64, v20
	v_sub_u16_e32 v36, v26, v8
	v_mul_u32_u24_e32 v8, 9, v36
	v_lshlrev_b32_e32 v56, 2, v8
	global_load_dwordx4 v[8:11], v56, s[12:13] offset:360
	global_load_dwordx4 v[12:15], v56, s[12:13] offset:376
	ds_read_u16 v57, v31
	ds_read_u16 v58, v32
	;; [unrolled: 1-line block ×3, first 2 shown]
	ds_read_u16 v60, v30 offset:7600
	global_load_dword v22, v[22:23], off offset:392
	s_movk_i32 s0, 0x63
	v_cmp_lt_u32_e64 s[0:1], s0, v24
	s_waitcnt vmcnt(4) lgkmcnt(3)
	v_mul_f16_sdwa v61, v57, v4 dst_sel:DWORD dst_unused:UNUSED_PAD src0_sel:DWORD src1_sel:WORD_1
	v_fma_f16 v61, v55, v4, -v61
	v_mul_f16_sdwa v23, v55, v4 dst_sel:DWORD dst_unused:UNUSED_PAD src0_sel:DWORD src1_sel:WORD_1
	global_load_dword v55, v56, s[12:13] offset:392
	ds_read_u16 v56, v30 offset:2400
	v_fma_f16 v4, v57, v4, v23
	s_waitcnt lgkmcnt(3)
	v_mul_f16_sdwa v23, v58, v5 dst_sel:DWORD dst_unused:UNUSED_PAD src0_sel:DWORD src1_sel:WORD_1
	v_fma_f16 v23, v54, v5, -v23
	v_mul_f16_sdwa v54, v54, v5 dst_sel:DWORD dst_unused:UNUSED_PAD src0_sel:DWORD src1_sel:WORD_1
	v_fma_f16 v5, v58, v5, v54
	ds_read_u16 v54, v30 offset:4000
	ds_read_u16 v57, v30 offset:3600
	;; [unrolled: 1-line block ×5, first 2 shown]
	s_waitcnt lgkmcnt(5)
	v_mul_f16_sdwa v64, v56, v6 dst_sel:DWORD dst_unused:UNUSED_PAD src0_sel:DWORD src1_sel:WORD_1
	v_fma_f16 v64, v53, v6, -v64
	v_mul_f16_sdwa v53, v53, v6 dst_sel:DWORD dst_unused:UNUSED_PAD src0_sel:DWORD src1_sel:WORD_1
	v_fma_f16 v6, v56, v6, v53
	s_waitcnt lgkmcnt(2)
	v_mul_f16_sdwa v53, v58, v7 dst_sel:DWORD dst_unused:UNUSED_PAD src0_sel:DWORD src1_sel:WORD_1
	v_fma_f16 v53, v52, v7, -v53
	v_mul_f16_sdwa v52, v52, v7 dst_sel:DWORD dst_unused:UNUSED_PAD src0_sel:DWORD src1_sel:WORD_1
	v_fma_f16 v7, v58, v7, v52
	ds_read_u16 v52, v30 offset:4800
	s_waitcnt vmcnt(4)
	v_mul_f16_sdwa v56, v54, v0 dst_sel:DWORD dst_unused:UNUSED_PAD src0_sel:DWORD src1_sel:WORD_1
	v_fma_f16 v56, v49, v0, -v56
	v_mul_f16_sdwa v49, v49, v0 dst_sel:DWORD dst_unused:UNUSED_PAD src0_sel:DWORD src1_sel:WORD_1
	v_fma_f16 v0, v54, v0, v49
	ds_read_u16 v49, v30 offset:6800
	ds_read_u16 v54, v30 offset:7200
	;; [unrolled: 1-line block ×7, first 2 shown]
	s_waitcnt lgkmcnt(7)
	v_mul_f16_sdwa v69, v52, v1 dst_sel:DWORD dst_unused:UNUSED_PAD src0_sel:DWORD src1_sel:WORD_1
	v_fma_f16 v69, v51, v1, -v69
	v_mul_f16_sdwa v51, v51, v1 dst_sel:DWORD dst_unused:UNUSED_PAD src0_sel:DWORD src1_sel:WORD_1
	v_fma_f16 v1, v52, v1, v51
	ds_read_u16 v52, v30 offset:1200
	s_waitcnt lgkmcnt(3)
	v_mul_f16_sdwa v51, v66, v2 dst_sel:DWORD dst_unused:UNUSED_PAD src0_sel:DWORD src1_sel:WORD_1
	v_fma_f16 v51, v50, v2, -v51
	v_mul_f16_sdwa v50, v50, v2 dst_sel:DWORD dst_unused:UNUSED_PAD src0_sel:DWORD src1_sel:WORD_1
	v_fma_f16 v2, v66, v2, v50
	v_mul_f16_sdwa v50, v58, v3 dst_sel:DWORD dst_unused:UNUSED_PAD src0_sel:DWORD src1_sel:WORD_1
	v_fma_f16 v50, v48, v3, -v50
	v_mul_f16_sdwa v48, v48, v3 dst_sel:DWORD dst_unused:UNUSED_PAD src0_sel:DWORD src1_sel:WORD_1
	v_fma_f16 v3, v58, v3, v48
	ds_read_u16 v48, v30
	s_waitcnt vmcnt(3) lgkmcnt(1)
	v_mul_f16_sdwa v58, v52, v8 dst_sel:DWORD dst_unused:UNUSED_PAD src0_sel:DWORD src1_sel:WORD_1
	v_fma_f16 v58, v45, v8, -v58
	v_mul_f16_sdwa v45, v45, v8 dst_sel:DWORD dst_unused:UNUSED_PAD src0_sel:DWORD src1_sel:WORD_1
	v_fma_f16 v45, v52, v8, v45
	v_mul_f16_sdwa v8, v63, v9 dst_sel:DWORD dst_unused:UNUSED_PAD src0_sel:DWORD src1_sel:WORD_1
	v_fma_f16 v52, v47, v9, -v8
	v_mul_f16_sdwa v8, v47, v9 dst_sel:DWORD dst_unused:UNUSED_PAD src0_sel:DWORD src1_sel:WORD_1
	v_fma_f16 v47, v63, v9, v8
	v_mul_f16_sdwa v8, v62, v10 dst_sel:DWORD dst_unused:UNUSED_PAD src0_sel:DWORD src1_sel:WORD_1
	v_mul_f16_sdwa v9, v44, v10 dst_sel:DWORD dst_unused:UNUSED_PAD src0_sel:DWORD src1_sel:WORD_1
	v_fma_f16 v8, v44, v10, -v8
	v_fma_f16 v44, v62, v10, v9
	v_mul_f16_sdwa v9, v57, v11 dst_sel:DWORD dst_unused:UNUSED_PAD src0_sel:DWORD src1_sel:WORD_1
	v_fma_f16 v62, v42, v11, -v9
	v_mul_f16_sdwa v9, v42, v11 dst_sel:DWORD dst_unused:UNUSED_PAD src0_sel:DWORD src1_sel:WORD_1
	v_fma_f16 v42, v57, v11, v9
	s_waitcnt vmcnt(2)
	v_mul_f16_sdwa v9, v68, v12 dst_sel:DWORD dst_unused:UNUSED_PAD src0_sel:DWORD src1_sel:WORD_1
	v_mul_f16_sdwa v10, v46, v12 dst_sel:DWORD dst_unused:UNUSED_PAD src0_sel:DWORD src1_sel:WORD_1
	v_fma_f16 v9, v46, v12, -v9
	v_fma_f16 v46, v68, v12, v10
	v_mul_f16_sdwa v10, v67, v13 dst_sel:DWORD dst_unused:UNUSED_PAD src0_sel:DWORD src1_sel:WORD_1
	v_fma_f16 v57, v43, v13, -v10
	v_mul_f16_sdwa v10, v43, v13 dst_sel:DWORD dst_unused:UNUSED_PAD src0_sel:DWORD src1_sel:WORD_1
	v_fma_f16 v43, v67, v13, v10
	v_mul_f16_sdwa v10, v65, v14 dst_sel:DWORD dst_unused:UNUSED_PAD src0_sel:DWORD src1_sel:WORD_1
	v_mul_f16_sdwa v11, v41, v14 dst_sel:DWORD dst_unused:UNUSED_PAD src0_sel:DWORD src1_sel:WORD_1
	v_fma_f16 v10, v41, v14, -v10
	v_fma_f16 v41, v65, v14, v11
	v_mul_f16_sdwa v11, v49, v15 dst_sel:DWORD dst_unused:UNUSED_PAD src0_sel:DWORD src1_sel:WORD_1
	v_fma_f16 v63, v39, v15, -v11
	v_mul_f16_sdwa v11, v39, v15 dst_sel:DWORD dst_unused:UNUSED_PAD src0_sel:DWORD src1_sel:WORD_1
	v_fma_f16 v39, v49, v15, v11
	s_waitcnt vmcnt(1)
	v_mul_f16_sdwa v11, v54, v22 dst_sel:DWORD dst_unused:UNUSED_PAD src0_sel:DWORD src1_sel:WORD_1
	v_fma_f16 v11, v38, v22, -v11
	v_mul_f16_sdwa v12, v38, v22 dst_sel:DWORD dst_unused:UNUSED_PAD src0_sel:DWORD src1_sel:WORD_1
	v_sub_f16_e32 v15, v50, v69
	v_fma_f16 v12, v54, v22, v12
	v_sub_f16_e32 v22, v5, v3
	v_sub_f16_e32 v49, v7, v1
	v_sub_f16_e32 v54, v69, v50
	s_waitcnt vmcnt(0) lgkmcnt(0)
	s_barrier
	v_mul_f16_sdwa v14, v40, v55 dst_sel:DWORD dst_unused:UNUSED_PAD src0_sel:DWORD src1_sel:WORD_1
	v_fma_f16 v38, v60, v55, v14
	v_sub_f16_e32 v14, v23, v53
	v_add_f16_e32 v14, v14, v15
	v_add_f16_e32 v15, v53, v69
	v_mul_f16_sdwa v13, v60, v55 dst_sel:DWORD dst_unused:UNUSED_PAD src0_sel:DWORD src1_sel:WORD_1
	v_fma_f16 v15, v15, -0.5, v37
	v_fma_f16 v13, v40, v55, -v13
	v_fma_f16 v40, v22, s9, v15
	v_fma_f16 v15, v22, s7, v15
	;; [unrolled: 1-line block ×6, first 2 shown]
	v_sub_f16_e32 v15, v53, v23
	v_add_f16_e32 v15, v15, v54
	v_add_f16_e32 v54, v23, v50
	v_fma_f16 v54, v54, -0.5, v37
	v_fma_f16 v55, v49, s7, v54
	v_fma_f16 v49, v49, s9, v54
	;; [unrolled: 1-line block ×6, first 2 shown]
	v_add_f16_e32 v22, v37, v23
	v_add_f16_e32 v22, v22, v53
	;; [unrolled: 1-line block ×4, first 2 shown]
	v_sub_f16_e32 v23, v23, v50
	v_sub_f16_e32 v37, v53, v69
	;; [unrolled: 1-line block ×4, first 2 shown]
	v_add_f16_e32 v50, v50, v53
	v_add_f16_e32 v53, v7, v1
	v_fma_f16 v53, v53, -0.5, v48
	v_fma_f16 v54, v23, s7, v53
	v_fma_f16 v53, v23, s9, v53
	;; [unrolled: 1-line block ×6, first 2 shown]
	v_add_f16_e32 v53, v5, v3
	v_fma_f16 v53, v53, -0.5, v48
	v_add_f16_e32 v48, v48, v5
	v_add_f16_e32 v48, v48, v7
	v_sub_f16_e32 v5, v7, v5
	v_add_f16_e32 v7, v48, v1
	v_sub_f16_e32 v1, v1, v3
	v_add_f16_e32 v7, v7, v3
	v_add_f16_e32 v1, v5, v1
	v_fma_f16 v3, v37, s9, v53
	v_fma_f16 v5, v37, s7, v53
	;; [unrolled: 1-line block ×6, first 2 shown]
	v_sub_f16_e32 v5, v64, v56
	v_sub_f16_e32 v23, v11, v51
	v_add_f16_e32 v5, v5, v23
	v_add_f16_e32 v23, v56, v51
	v_fma_f16 v23, v23, -0.5, v61
	v_sub_f16_e32 v37, v6, v12
	v_fma_f16 v48, v37, s9, v23
	v_sub_f16_e32 v53, v0, v2
	v_fma_f16 v23, v37, s7, v23
	v_fma_f16 v48, v53, s14, v48
	v_fma_f16 v23, v53, s8, v23
	v_fma_f16 v48, v5, s6, v48
	v_fma_f16 v5, v5, s6, v23
	v_sub_f16_e32 v23, v56, v64
	v_sub_f16_e32 v55, v51, v11
	v_add_f16_e32 v23, v23, v55
	v_add_f16_e32 v55, v64, v11
	v_fma_f16 v55, v55, -0.5, v61
	v_fma_f16 v60, v53, s7, v55
	v_fma_f16 v53, v53, s9, v55
	;; [unrolled: 1-line block ×6, first 2 shown]
	v_add_f16_e32 v37, v61, v64
	v_add_f16_e32 v37, v37, v56
	;; [unrolled: 1-line block ×3, first 2 shown]
	v_sub_f16_e32 v51, v56, v51
	v_sub_f16_e32 v55, v6, v0
	;; [unrolled: 1-line block ×3, first 2 shown]
	v_add_f16_e32 v55, v55, v56
	v_add_f16_e32 v56, v0, v2
	;; [unrolled: 1-line block ×3, first 2 shown]
	v_sub_f16_e32 v11, v64, v11
	v_fma_f16 v56, v56, -0.5, v4
	v_fma_f16 v60, v11, s7, v56
	v_fma_f16 v56, v11, s9, v56
	;; [unrolled: 1-line block ×6, first 2 shown]
	v_add_f16_e32 v56, v6, v12
	v_fma_f16 v56, v56, -0.5, v4
	v_add_f16_e32 v4, v4, v6
	v_add_f16_e32 v4, v4, v0
	v_sub_f16_e32 v0, v0, v6
	v_add_f16_e32 v4, v4, v2
	v_sub_f16_e32 v2, v2, v12
	v_add_f16_e32 v0, v0, v2
	v_fma_f16 v2, v51, s9, v56
	v_fma_f16 v6, v51, s7, v56
	;; [unrolled: 1-line block ×6, first 2 shown]
	v_mul_f16_e32 v6, 0x38b4, v60
	v_fma_f16 v6, v48, s15, v6
	v_mul_f16_e32 v11, 0xb8b4, v48
	v_mul_f16_e32 v48, 0xbb9c, v53
	v_add_f16_e32 v4, v4, v12
	v_mul_f16_e32 v12, 0x3b9c, v2
	v_fma_f16 v2, v2, s6, v48
	v_mul_f16_e32 v48, 0x34f2, v23
	v_fma_f16 v48, v0, s9, -v48
	v_mul_f16_e32 v0, 0x34f2, v0
	v_fma_f16 v0, v23, s7, -v0
	v_add_f16_e32 v64, v1, v0
	v_sub_f16_e32 v65, v1, v0
	v_sub_f16_e32 v0, v52, v62
	;; [unrolled: 1-line block ×3, first 2 shown]
	v_add_f16_e32 v0, v0, v1
	v_add_f16_e32 v1, v62, v57
	v_fma_f16 v11, v60, s15, v11
	v_mul_f16_e32 v23, 0x3a79, v5
	v_add_f16_e32 v60, v3, v2
	v_sub_f16_e32 v61, v3, v2
	v_fma_f16 v1, v1, -0.5, v34
	v_sub_f16_e32 v2, v47, v39
	v_fma_f16 v12, v53, s6, v12
	v_fma_f16 v23, v55, s14, -v23
	v_mul_f16_e32 v51, 0x3a79, v55
	v_add_f16_e32 v53, v7, v4
	v_sub_f16_e32 v55, v7, v4
	v_fma_f16 v3, v2, s9, v1
	v_sub_f16_e32 v4, v42, v43
	v_fma_f16 v1, v2, s7, v1
	v_fma_f16 v5, v5, s8, -v51
	v_fma_f16 v3, v4, s14, v3
	v_fma_f16 v1, v4, s8, v1
	v_add_f16_e32 v66, v50, v5
	v_sub_f16_e32 v50, v50, v5
	v_fma_f16 v3, v0, s6, v3
	v_fma_f16 v0, v0, s6, v1
	v_sub_f16_e32 v1, v62, v52
	v_sub_f16_e32 v5, v57, v63
	v_add_f16_e32 v1, v1, v5
	v_add_f16_e32 v5, v52, v63
	v_fma_f16 v5, v5, -0.5, v34
	v_fma_f16 v7, v4, s7, v5
	v_fma_f16 v4, v4, s9, v5
	;; [unrolled: 1-line block ×6, first 2 shown]
	v_sub_f16_e32 v2, v8, v9
	v_sub_f16_e32 v5, v13, v10
	v_add_f16_e32 v2, v2, v5
	v_add_f16_e32 v5, v9, v10
	v_fma_f16 v5, v5, -0.5, v58
	v_sub_f16_e32 v7, v44, v38
	v_add_f16_e32 v51, v22, v37
	v_sub_f16_e32 v22, v22, v37
	v_add_f16_e32 v37, v40, v6
	;; [unrolled: 2-line block ×6, first 2 shown]
	v_sub_f16_e32 v54, v54, v11
	v_fma_f16 v11, v7, s9, v5
	v_sub_f16_e32 v23, v46, v41
	v_fma_f16 v5, v7, s7, v5
	v_fma_f16 v11, v23, s14, v11
	;; [unrolled: 1-line block ×5, first 2 shown]
	v_sub_f16_e32 v2, v9, v8
	v_sub_f16_e32 v5, v10, v13
	v_add_f16_e32 v2, v2, v5
	v_add_f16_e32 v5, v8, v13
	v_fma_f16 v5, v5, -0.5, v58
	v_fma_f16 v11, v23, s7, v5
	v_fma_f16 v5, v23, s9, v5
	v_fma_f16 v11, v7, s14, v11
	v_fma_f16 v5, v7, s8, v5
	v_fma_f16 v69, v2, s6, v11
	v_fma_f16 v70, v2, s6, v5
	v_add_f16_e32 v2, v58, v8
	v_add_f16_e32 v2, v2, v9
	v_sub_f16_e32 v5, v8, v13
	v_sub_f16_e32 v7, v9, v10
	;; [unrolled: 1-line block ×4, first 2 shown]
	v_add_f16_e32 v8, v8, v9
	v_add_f16_e32 v9, v46, v41
	v_fma_f16 v9, v9, -0.5, v45
	v_add_f16_e32 v2, v2, v10
	v_fma_f16 v10, v5, s7, v9
	v_fma_f16 v9, v5, s9, v9
	;; [unrolled: 1-line block ×6, first 2 shown]
	v_sub_f16_e32 v8, v46, v44
	v_sub_f16_e32 v9, v41, v38
	v_add_f16_e32 v8, v8, v9
	v_add_f16_e32 v9, v44, v38
	v_fma_f16 v9, v9, -0.5, v45
	v_fma_f16 v10, v7, s9, v9
	v_fma_f16 v7, v7, s7, v9
	;; [unrolled: 1-line block ×5, first 2 shown]
	v_add_f16_e32 v5, v34, v52
	v_add_f16_e32 v5, v5, v62
	;; [unrolled: 1-line block ×6, first 2 shown]
	v_sub_f16_e32 v2, v5, v2
	v_mul_f16_e32 v5, 0x38b4, v58
	v_fma_f16 v72, v8, s6, v9
	v_fma_f16 v5, v67, s15, v5
	v_add_f16_e32 v8, v3, v5
	v_sub_f16_e32 v3, v3, v5
	v_mul_f16_e32 v5, 0x3b9c, v72
	v_fma_f16 v5, v69, s6, v5
	v_add_f16_e32 v9, v4, v5
	v_sub_f16_e32 v4, v4, v5
	v_mul_f16_e32 v5, 0x34f2, v70
	v_fma_f16 v5, v73, s9, -v5
	v_add_f16_e32 v10, v1, v5
	v_sub_f16_e32 v1, v1, v5
	v_mul_f16_e32 v5, 0x3a79, v68
	v_fma_f16 v5, v71, s14, -v5
	v_add_f16_e32 v11, v0, v5
	v_sub_f16_e32 v0, v0, v5
	v_mov_b32_e32 v5, 0x7d0
	v_cndmask_b32_e64 v5, 0, v5, s[0:1]
	v_lshlrev_b32_e32 v13, 1, v35
	v_add3_u32 v74, 0, v5, v13
	ds_write_b16 v74, v51
	ds_write_b16 v74, v37 offset:200
	ds_write_b16 v74, v40 offset:400
	;; [unrolled: 1-line block ×9, first 2 shown]
	v_mul_u32_u24_e32 v5, 0x7d0, v20
	v_lshlrev_b32_e32 v6, 1, v36
	v_add3_u32 v20, 0, v5, v6
	ds_write_b16 v20, v7
	ds_write_b16 v20, v8 offset:200
	ds_write_b16 v20, v9 offset:400
	ds_write_b16 v20, v10 offset:600
	ds_write_b16 v20, v11 offset:800
	ds_write_b16 v20, v2 offset:1000
	ds_write_b16 v20, v3 offset:1200
	ds_write_b16 v20, v4 offset:1400
	ds_write_b16 v20, v1 offset:1600
	ds_write_b16 v20, v0 offset:1800
	s_waitcnt lgkmcnt(0)
	s_barrier
	ds_read_u16 v10, v31
	v_lshl_add_u32 v35, v28, 1, 0
	ds_read_u16 v2, v30
	ds_read_u16 v3, v30 offset:2000
	ds_read_u16 v7, v30 offset:2400
	;; [unrolled: 1-line block ×6, first 2 shown]
	ds_read_u16 v6, v33
	ds_read_u16 v14, v35
	;; [unrolled: 1-line block ×3, first 2 shown]
	ds_read_u16 v8, v30 offset:4400
	ds_read_u16 v4, v30 offset:4000
	;; [unrolled: 1-line block ×9, first 2 shown]
	v_sub_f16_e32 v40, v47, v42
	v_sub_f16_e32 v48, v39, v43
	v_add_f16_e32 v40, v40, v48
	v_add_f16_e32 v48, v42, v43
	v_sub_f16_e32 v36, v52, v63
	v_fma_f16 v48, v48, -0.5, v59
	s_waitcnt lgkmcnt(0)
	s_barrier
	ds_write_b16 v74, v53
	ds_write_b16 v74, v56 offset:200
	ds_write_b16 v74, v60 offset:400
	;; [unrolled: 1-line block ×9, first 2 shown]
	v_sub_f16_e32 v37, v62, v57
	v_fma_f16 v49, v36, s7, v48
	v_fma_f16 v48, v36, s9, v48
	v_add_f16_e32 v50, v59, v47
	v_fma_f16 v49, v37, s8, v49
	v_fma_f16 v48, v37, s14, v48
	v_add_f16_e32 v50, v50, v42
	;; [unrolled: 3-line block ×3, first 2 shown]
	v_sub_f16_e32 v42, v42, v47
	v_add_f16_e32 v47, v50, v43
	v_fma_f16 v48, v48, -0.5, v59
	v_add_f16_e32 v47, v47, v39
	v_sub_f16_e32 v39, v43, v39
	v_add_f16_e32 v39, v42, v39
	v_fma_f16 v42, v37, s9, v48
	v_fma_f16 v37, v37, s7, v48
	;; [unrolled: 1-line block ×6, first 2 shown]
	v_add_f16_e32 v39, v45, v44
	v_add_f16_e32 v39, v39, v46
	;; [unrolled: 1-line block ×4, first 2 shown]
	v_mul_f16_e32 v39, 0xb8b4, v67
	v_mul_f16_e32 v41, 0xbb9c, v69
	;; [unrolled: 1-line block ×4, first 2 shown]
	v_fma_f16 v39, v58, s15, v39
	v_fma_f16 v41, v72, s6, v41
	v_fma_f16 v42, v70, s7, -v42
	v_fma_f16 v43, v68, s8, -v43
	v_add_f16_e32 v44, v47, v38
	v_sub_f16_e32 v38, v47, v38
	v_add_f16_e32 v45, v49, v39
	v_sub_f16_e32 v39, v49, v39
	v_add_f16_e32 v46, v37, v41
	v_sub_f16_e32 v37, v37, v41
	v_add_f16_e32 v41, v36, v42
	v_sub_f16_e32 v36, v36, v42
	v_add_f16_e32 v42, v40, v43
	v_sub_f16_e32 v40, v40, v43
	ds_write_b16 v20, v44
	ds_write_b16 v20, v45 offset:200
	ds_write_b16 v20, v46 offset:400
	ds_write_b16 v20, v41 offset:600
	ds_write_b16 v20, v42 offset:800
	ds_write_b16 v20, v38 offset:1000
	ds_write_b16 v20, v39 offset:1200
	ds_write_b16 v20, v37 offset:1400
	ds_write_b16 v20, v36 offset:1600
	ds_write_b16 v20, v40 offset:1800
	s_waitcnt lgkmcnt(0)
	s_barrier
	s_and_saveexec_b64 s[0:1], vcc
	s_cbranch_execz .LBB0_15
; %bb.14:
	v_mul_i32_i24_e32 v20, 3, v27
	v_lshlrev_b64 v[36:37], 2, v[20:21]
	v_mul_i32_i24_e32 v20, 3, v28
	v_mov_b32_e32 v47, s13
	v_add_co_u32_e32 v36, vcc, s12, v36
	v_lshlrev_b64 v[27:28], 2, v[20:21]
	v_addc_co_u32_e32 v37, vcc, v47, v37, vcc
	global_load_dwordx3 v[36:38], v[36:37], off offset:3960
	v_add_co_u32_e32 v27, vcc, s12, v27
	v_addc_co_u32_e32 v28, vcc, v47, v28, vcc
	global_load_dwordx3 v[39:41], v[27:28], off offset:3960
	v_mul_i32_i24_e32 v20, 3, v25
	v_mul_lo_u32 v27, s5, v18
	v_mul_lo_u32 v48, s4, v19
	v_mad_u64_u32 v[45:46], s[0:1], s4, v18, 0
	v_lshlrev_b64 v[18:19], 2, v[20:21]
	v_mul_i32_i24_e32 v20, 3, v26
	v_add_co_u32_e32 v18, vcc, s12, v18
	v_addc_co_u32_e32 v19, vcc, v47, v19, vcc
	global_load_dwordx3 v[42:44], v[18:19], off offset:3960
	v_mul_u32_u24_e32 v18, 3, v24
	v_lshlrev_b32_e32 v58, 2, v18
	v_lshlrev_b64 v[18:19], 2, v[20:21]
	v_mul_i32_i24_e32 v28, 0xffffffee, v26
	v_add_co_u32_e32 v18, vcc, s12, v18
	ds_read_u16 v35, v35
	ds_read_u16 v25, v30 offset:7600
	ds_read_u16 v49, v30 offset:7200
	ds_read_u16 v50, v30 offset:6800
	ds_read_u16 v51, v30 offset:6400
	ds_read_u16 v52, v30 offset:6000
	ds_read_u16 v53, v30 offset:5600
	ds_read_u16 v54, v30 offset:5200
	ds_read_u16 v55, v30 offset:4800
	ds_read_u16 v32, v32
	ds_read_u16 v31, v31
	ds_read_u16 v56, v30 offset:4400
	ds_read_u16 v57, v30 offset:4000
	v_addc_co_u32_e32 v19, vcc, v47, v19, vcc
	ds_read_u16 v26, v30 offset:3600
	ds_read_u16 v59, v30 offset:3200
	global_load_dwordx3 v[18:20], v[18:19], off offset:3960
	v_add3_u32 v46, v46, v48, v27
	v_add_u32_e32 v28, v29, v28
	ds_read_u16 v28, v28
	s_mov_b32 s0, 0x10624dd3
	s_movk_i32 s1, 0xfa0
	s_waitcnt vmcnt(3) lgkmcnt(9)
	v_mul_f16_sdwa v21, v53, v37 dst_sel:DWORD dst_unused:UNUSED_PAD src0_sel:DWORD src1_sel:WORD_1
	v_mul_f16_sdwa v27, v0, v36 dst_sel:DWORD dst_unused:UNUSED_PAD src0_sel:DWORD src1_sel:WORD_1
	;; [unrolled: 1-line block ×4, first 2 shown]
	s_waitcnt lgkmcnt(2)
	v_mul_f16_sdwa v60, v26, v36 dst_sel:DWORD dst_unused:UNUSED_PAD src0_sel:DWORD src1_sel:WORD_1
	v_mul_f16_sdwa v61, v25, v38 dst_sel:DWORD dst_unused:UNUSED_PAD src0_sel:DWORD src1_sel:WORD_1
	v_fma_f16 v21, v34, v37, -v21
	v_fma_f16 v26, v26, v36, v27
	v_fma_f16 v25, v25, v38, v47
	v_fma_f16 v27, v37, v53, v48
	v_fma_f16 v34, v0, v36, -v60
	v_fma_f16 v0, v1, v38, -v61
	s_waitcnt vmcnt(2)
	v_mul_f16_sdwa v1, v54, v40 dst_sel:DWORD dst_unused:UNUSED_PAD src0_sel:DWORD src1_sel:WORD_1
	v_sub_f16_e32 v21, v33, v21
	v_sub_f16_e32 v25, v26, v25
	;; [unrolled: 1-line block ×4, first 2 shown]
	v_fma_f16 v47, v22, v40, -v1
	v_sub_f16_e32 v0, v21, v25
	v_add_f16_e32 v1, v27, v38
	v_fma_f16 v32, v32, 2.0, -v27
	v_fma_f16 v25, v26, 2.0, -v25
	;; [unrolled: 1-line block ×3, first 2 shown]
	v_sub_f16_e32 v38, v14, v47
	v_fma_f16 v47, v27, 2.0, -v1
	v_sub_f16_e32 v53, v32, v25
	global_load_dwordx3 v[25:27], v58, s[12:13] offset:3960
	v_mul_f16_sdwa v22, v22, v40 dst_sel:DWORD dst_unused:UNUSED_PAD src0_sel:DWORD src1_sel:WORD_1
	v_mul_f16_sdwa v36, v15, v39 dst_sel:DWORD dst_unused:UNUSED_PAD src0_sel:DWORD src1_sel:WORD_1
	ds_read_u16 v48, v30 offset:2800
	v_fma_f16 v22, v40, v54, v22
	s_waitcnt lgkmcnt(2)
	v_mul_f16_sdwa v40, v59, v39 dst_sel:DWORD dst_unused:UNUSED_PAD src0_sel:DWORD src1_sel:WORD_1
	v_fma_f16 v36, v59, v39, v36
	v_fma_f16 v15, v15, v39, -v40
	v_mul_f16_sdwa v39, v49, v41 dst_sel:DWORD dst_unused:UNUSED_PAD src0_sel:DWORD src1_sel:WORD_1
	v_mul_f16_sdwa v37, v23, v41 dst_sel:DWORD dst_unused:UNUSED_PAD src0_sel:DWORD src1_sel:WORD_1
	v_fma_f16 v23, v23, v41, -v39
	v_sub_f16_e32 v22, v35, v22
	v_sub_f16_e32 v23, v15, v23
	v_add_f16_e32 v39, v22, v23
	v_fma_f16 v37, v49, v41, v37
	v_fma_f16 v40, v22, 2.0, -v39
	v_fma_f16 v22, v35, 2.0, -v22
	s_waitcnt vmcnt(2)
	v_mul_f16_sdwa v35, v55, v43 dst_sel:DWORD dst_unused:UNUSED_PAD src0_sel:DWORD src1_sel:WORD_1
	v_sub_f16_e32 v37, v36, v37
	v_fma_f16 v35, v12, v43, -v35
	v_mul_f16_sdwa v12, v12, v43 dst_sel:DWORD dst_unused:UNUSED_PAD src0_sel:DWORD src1_sel:WORD_1
	v_sub_f16_e32 v60, v38, v37
	v_fma_f16 v15, v15, 2.0, -v23
	v_fma_f16 v23, v36, 2.0, -v37
	ds_read_u16 v37, v30 offset:2400
	v_mul_f16_sdwa v36, v11, v42 dst_sel:DWORD dst_unused:UNUSED_PAD src0_sel:DWORD src1_sel:WORD_1
	v_fma_f16 v12, v43, v55, v12
	s_waitcnt lgkmcnt(1)
	v_mul_f16_sdwa v43, v48, v42 dst_sel:DWORD dst_unused:UNUSED_PAD src0_sel:DWORD src1_sel:WORD_1
	v_fma_f16 v36, v48, v42, v36
	v_fma_f16 v11, v11, v42, -v43
	v_mul_f16_sdwa v42, v50, v44 dst_sel:DWORD dst_unused:UNUSED_PAD src0_sel:DWORD src1_sel:WORD_1
	v_fma_f16 v58, v38, 2.0, -v60
	v_fma_f16 v14, v14, 2.0, -v38
	v_mul_f16_sdwa v38, v13, v44 dst_sel:DWORD dst_unused:UNUSED_PAD src0_sel:DWORD src1_sel:WORD_1
	v_fma_f16 v13, v13, v44, -v42
	v_sub_f16_e32 v12, v31, v12
	v_sub_f16_e32 v13, v11, v13
	v_fma_f16 v38, v50, v44, v38
	v_add_f16_e32 v42, v12, v13
	v_sub_f16_e32 v35, v10, v35
	v_sub_f16_e32 v38, v36, v38
	v_fma_f16 v43, v12, 2.0, -v42
	v_fma_f16 v12, v31, 2.0, -v12
	s_waitcnt vmcnt(1)
	v_mul_f16_sdwa v31, v56, v19 dst_sel:DWORD dst_unused:UNUSED_PAD src0_sel:DWORD src1_sel:WORD_1
	v_sub_f16_e32 v41, v35, v38
	v_fma_f16 v31, v8, v19, -v31
	v_mul_f16_sdwa v8, v8, v19 dst_sel:DWORD dst_unused:UNUSED_PAD src0_sel:DWORD src1_sel:WORD_1
	v_fma_f16 v49, v35, 2.0, -v41
	v_fma_f16 v10, v10, 2.0, -v35
	;; [unrolled: 1-line block ×4, first 2 shown]
	ds_read_u16 v36, v30 offset:2000
	v_mul_f16_sdwa v35, v7, v18 dst_sel:DWORD dst_unused:UNUSED_PAD src0_sel:DWORD src1_sel:WORD_1
	v_fma_f16 v8, v19, v56, v8
	s_waitcnt lgkmcnt(1)
	v_mul_f16_sdwa v19, v37, v18 dst_sel:DWORD dst_unused:UNUSED_PAD src0_sel:DWORD src1_sel:WORD_1
	v_fma_f16 v35, v37, v18, v35
	v_fma_f16 v7, v7, v18, -v19
	v_mul_f16_sdwa v18, v51, v20 dst_sel:DWORD dst_unused:UNUSED_PAD src0_sel:DWORD src1_sel:WORD_1
	v_mul_f16_sdwa v38, v9, v20 dst_sel:DWORD dst_unused:UNUSED_PAD src0_sel:DWORD src1_sel:WORD_1
	v_fma_f16 v9, v9, v20, -v18
	v_sub_f16_e32 v31, v6, v31
	v_sub_f16_e32 v9, v7, v9
	v_fma_f16 v6, v6, 2.0, -v31
	v_fma_f16 v7, v7, 2.0, -v9
	ds_read_u16 v30, v30
	v_sub_f16_e32 v8, v28, v8
	v_fma_f16 v38, v51, v20, v38
	v_add_f16_e32 v18, v8, v9
	v_sub_f16_e32 v9, v6, v7
	v_sub_f16_e32 v38, v35, v38
	v_fma_f16 v20, v6, 2.0, -v9
	v_fma_f16 v19, v8, 2.0, -v18
	;; [unrolled: 1-line block ×4, first 2 shown]
	v_sub_f16_e32 v29, v31, v38
	v_sub_f16_e32 v8, v7, v8
	v_fma_f16 v44, v31, 2.0, -v29
	v_fma_f16 v28, v7, 2.0, -v8
	v_pack_b32_f16 v20, v20, v28
	v_pack_b32_f16 v8, v9, v8
	s_waitcnt vmcnt(0)
	v_mul_f16_sdwa v6, v57, v26 dst_sel:DWORD dst_unused:UNUSED_PAD src0_sel:DWORD src1_sel:WORD_1
	v_fma_f16 v6, v4, v26, -v6
	v_mul_f16_sdwa v4, v4, v26 dst_sel:DWORD dst_unused:UNUSED_PAD src0_sel:DWORD src1_sel:WORD_1
	v_fma_f16 v4, v26, v57, v4
	s_waitcnt lgkmcnt(1)
	v_mul_f16_sdwa v26, v36, v25 dst_sel:DWORD dst_unused:UNUSED_PAD src0_sel:DWORD src1_sel:WORD_1
	v_mul_f16_sdwa v7, v3, v25 dst_sel:DWORD dst_unused:UNUSED_PAD src0_sel:DWORD src1_sel:WORD_1
	;; [unrolled: 1-line block ×3, first 2 shown]
	v_fma_f16 v3, v3, v25, -v26
	v_mul_hi_u32 v26, v24, s0
	v_fma_f16 v7, v36, v25, v7
	v_fma_f16 v31, v52, v27, v31
	v_sub_f16_e32 v6, v2, v6
	v_sub_f16_e32 v31, v7, v31
	;; [unrolled: 1-line block ×3, first 2 shown]
	v_fma_f16 v37, v6, 2.0, -v35
	v_mul_f16_sdwa v25, v52, v27 dst_sel:DWORD dst_unused:UNUSED_PAD src0_sel:DWORD src1_sel:WORD_1
	v_fma_f16 v6, v2, 2.0, -v6
	v_lshrrev_b32_e32 v2, 6, v26
	v_fma_f16 v5, v5, v27, -v25
	v_mul_u32_u24_e32 v2, 0x3e8, v2
	s_waitcnt lgkmcnt(0)
	v_sub_f16_e32 v4, v30, v4
	v_sub_f16_e32 v5, v3, v5
	v_sub_u32_e32 v26, v24, v2
	v_add_f16_e32 v25, v4, v5
	v_fma_f16 v5, v3, 2.0, -v5
	v_mad_u64_u32 v[2:3], s[4:5], s2, v26, 0
	v_sub_f16_e32 v36, v6, v5
	v_fma_f16 v5, v30, 2.0, -v4
	v_fma_f16 v7, v7, 2.0, -v31
	;; [unrolled: 1-line block ×3, first 2 shown]
	v_mad_u64_u32 v[3:4], s[4:5], s3, v26, v[3:4]
	v_sub_f16_e32 v30, v5, v7
	v_fma_f16 v7, v5, 2.0, -v30
	v_lshlrev_b64 v[4:5], 2, v[45:46]
	v_mov_b32_e32 v31, s11
	v_add_co_u32_e32 v38, vcc, s10, v4
	v_addc_co_u32_e32 v31, vcc, v31, v5, vcc
	v_lshlrev_b64 v[4:5], 2, v[16:17]
	v_fma_f16 v6, v6, 2.0, -v36
	v_add_co_u32_e32 v16, vcc, v38, v4
	v_addc_co_u32_e32 v17, vcc, v31, v5, vcc
	v_add_u32_e32 v31, 0x3e8, v26
	v_mad_u64_u32 v[4:5], s[4:5], s2, v31, 0
	v_pack_b32_f16 v38, v6, v7
	v_lshlrev_b64 v[2:3], 2, v[2:3]
	v_mad_u64_u32 v[5:6], s[4:5], s3, v31, v[5:6]
	v_add_u32_e32 v31, 0x7d0, v26
	v_mad_u64_u32 v[6:7], s[4:5], s2, v31, 0
	v_add_co_u32_e32 v2, vcc, v16, v2
	v_addc_co_u32_e32 v3, vcc, v17, v3, vcc
	global_store_dword v[2:3], v38, off
	v_lshlrev_b64 v[2:3], 2, v[4:5]
	v_mov_b32_e32 v4, v7
	v_mad_u64_u32 v[4:5], s[4:5], s3, v31, v[4:5]
	v_add_co_u32_e32 v2, vcc, v16, v2
	v_addc_co_u32_e32 v3, vcc, v17, v3, vcc
	v_pack_b32_f16 v5, v37, v27
	v_mov_b32_e32 v7, v4
	global_store_dword v[2:3], v5, off
	v_lshlrev_b64 v[2:3], 2, v[6:7]
	v_add_u32_e32 v6, 0xbb8, v26
	v_mad_u64_u32 v[4:5], s[4:5], s2, v6, 0
	v_add_u32_e32 v7, 0xc8, v24
	v_mul_hi_u32 v27, v7, s0
	v_mad_u64_u32 v[5:6], s[4:5], s3, v6, v[5:6]
	v_add_co_u32_e32 v2, vcc, v16, v2
	v_lshrrev_b32_e32 v6, 6, v27
	v_mul_u32_u24_e32 v27, 0x3e8, v6
	v_sub_u32_e32 v7, v7, v27
	v_mad_u32_u24 v27, v6, s1, v7
	v_mad_u64_u32 v[6:7], s[4:5], s2, v27, 0
	v_addc_co_u32_e32 v3, vcc, v17, v3, vcc
	v_pack_b32_f16 v26, v36, v30
	global_store_dword v[2:3], v26, off
	v_lshlrev_b64 v[2:3], 2, v[4:5]
	v_mov_b32_e32 v4, v7
	v_mad_u64_u32 v[4:5], s[4:5], s3, v27, v[4:5]
	v_add_co_u32_e32 v2, vcc, v16, v2
	v_addc_co_u32_e32 v3, vcc, v17, v3, vcc
	v_pack_b32_f16 v5, v35, v25
	v_mov_b32_e32 v7, v4
	global_store_dword v[2:3], v5, off
	v_lshlrev_b64 v[2:3], 2, v[6:7]
	v_add_u32_e32 v6, 0x3e8, v27
	v_mad_u64_u32 v[4:5], s[4:5], s2, v6, 0
	v_add_u32_e32 v25, 0x7d0, v27
	v_add_co_u32_e32 v2, vcc, v16, v2
	v_mad_u64_u32 v[5:6], s[4:5], s3, v6, v[5:6]
	v_mad_u64_u32 v[6:7], s[4:5], s2, v25, 0
	v_addc_co_u32_e32 v3, vcc, v17, v3, vcc
	global_store_dword v[2:3], v20, off
	v_lshlrev_b64 v[2:3], 2, v[4:5]
	v_mov_b32_e32 v4, v7
	v_mad_u64_u32 v[4:5], s[4:5], s3, v25, v[4:5]
	v_add_co_u32_e32 v2, vcc, v16, v2
	v_addc_co_u32_e32 v3, vcc, v17, v3, vcc
	v_pack_b32_f16 v5, v44, v19
	v_mov_b32_e32 v7, v4
	global_store_dword v[2:3], v5, off
	v_lshlrev_b64 v[2:3], 2, v[6:7]
	v_add_u32_e32 v6, 0xbb8, v27
	v_mad_u64_u32 v[4:5], s[4:5], s2, v6, 0
	v_add_u32_e32 v7, 0x190, v24
	v_mul_hi_u32 v9, v7, s0
	v_mad_u64_u32 v[5:6], s[4:5], s3, v6, v[5:6]
	v_add_co_u32_e32 v2, vcc, v16, v2
	v_lshrrev_b32_e32 v6, 6, v9
	v_mul_u32_u24_e32 v9, 0x3e8, v6
	v_sub_u32_e32 v7, v7, v9
	v_mad_u32_u24 v9, v6, s1, v7
	v_mad_u64_u32 v[6:7], s[4:5], s2, v9, 0
	v_addc_co_u32_e32 v3, vcc, v17, v3, vcc
	global_store_dword v[2:3], v8, off
	v_lshlrev_b64 v[2:3], 2, v[4:5]
	v_mov_b32_e32 v4, v7
	v_mad_u64_u32 v[4:5], s[4:5], s3, v9, v[4:5]
	v_add_co_u32_e32 v2, vcc, v16, v2
	v_addc_co_u32_e32 v3, vcc, v17, v3, vcc
	v_pack_b32_f16 v5, v29, v18
	v_mov_b32_e32 v7, v4
	global_store_dword v[2:3], v5, off
	v_lshlrev_b64 v[2:3], 2, v[6:7]
	v_add_u32_e32 v6, 0x3e8, v9
	v_mad_u64_u32 v[4:5], s[4:5], s2, v6, 0
	v_sub_f16_e32 v11, v10, v11
	v_sub_f16_e32 v13, v12, v13
	v_fma_f16 v10, v10, 2.0, -v11
	v_fma_f16 v12, v12, 2.0, -v13
	v_pack_b32_f16 v8, v10, v12
	v_mad_u64_u32 v[5:6], s[4:5], s3, v6, v[5:6]
	v_add_u32_e32 v10, 0x7d0, v9
	v_mad_u64_u32 v[6:7], s[4:5], s2, v10, 0
	v_add_co_u32_e32 v2, vcc, v16, v2
	v_addc_co_u32_e32 v3, vcc, v17, v3, vcc
	global_store_dword v[2:3], v8, off
	v_lshlrev_b64 v[2:3], 2, v[4:5]
	v_mov_b32_e32 v4, v7
	v_mad_u64_u32 v[4:5], s[4:5], s3, v10, v[4:5]
	v_add_co_u32_e32 v2, vcc, v16, v2
	v_addc_co_u32_e32 v3, vcc, v17, v3, vcc
	v_pack_b32_f16 v5, v49, v43
	v_mov_b32_e32 v7, v4
	global_store_dword v[2:3], v5, off
	v_lshlrev_b64 v[2:3], 2, v[6:7]
	v_add_u32_e32 v6, 0xbb8, v9
	v_mad_u64_u32 v[4:5], s[4:5], s2, v6, 0
	v_add_u32_e32 v7, 0x258, v24
	v_mul_hi_u32 v9, v7, s0
	v_mad_u64_u32 v[5:6], s[4:5], s3, v6, v[5:6]
	v_add_co_u32_e32 v2, vcc, v16, v2
	v_lshrrev_b32_e32 v6, 6, v9
	v_mul_u32_u24_e32 v9, 0x3e8, v6
	v_sub_u32_e32 v7, v7, v9
	v_mad_u32_u24 v9, v6, s1, v7
	v_mad_u64_u32 v[6:7], s[4:5], s2, v9, 0
	v_addc_co_u32_e32 v3, vcc, v17, v3, vcc
	v_pack_b32_f16 v8, v11, v13
	global_store_dword v[2:3], v8, off
	v_lshlrev_b64 v[2:3], 2, v[4:5]
	v_mov_b32_e32 v4, v7
	v_mad_u64_u32 v[4:5], s[4:5], s3, v9, v[4:5]
	v_add_co_u32_e32 v2, vcc, v16, v2
	v_addc_co_u32_e32 v3, vcc, v17, v3, vcc
	v_pack_b32_f16 v5, v41, v42
	v_mov_b32_e32 v7, v4
	global_store_dword v[2:3], v5, off
	v_lshlrev_b64 v[2:3], 2, v[6:7]
	v_add_u32_e32 v6, 0x3e8, v9
	v_mad_u64_u32 v[4:5], s[4:5], s2, v6, 0
	v_add_u32_e32 v10, 0x7d0, v9
	v_sub_f16_e32 v15, v14, v15
	v_mad_u64_u32 v[5:6], s[4:5], s3, v6, v[5:6]
	v_mad_u64_u32 v[6:7], s[4:5], s2, v10, 0
	v_sub_f16_e32 v23, v22, v23
	v_fma_f16 v14, v14, 2.0, -v15
	v_fma_f16 v22, v22, 2.0, -v23
	v_add_co_u32_e32 v2, vcc, v16, v2
	v_addc_co_u32_e32 v3, vcc, v17, v3, vcc
	v_pack_b32_f16 v8, v14, v22
	global_store_dword v[2:3], v8, off
	v_lshlrev_b64 v[2:3], 2, v[4:5]
	v_mov_b32_e32 v4, v7
	v_mad_u64_u32 v[4:5], s[4:5], s3, v10, v[4:5]
	v_add_co_u32_e32 v2, vcc, v16, v2
	v_addc_co_u32_e32 v3, vcc, v17, v3, vcc
	v_pack_b32_f16 v5, v58, v40
	v_mov_b32_e32 v7, v4
	global_store_dword v[2:3], v5, off
	v_lshlrev_b64 v[2:3], 2, v[6:7]
	v_add_u32_e32 v6, 0xbb8, v9
	v_mad_u64_u32 v[4:5], s[4:5], s2, v6, 0
	v_add_co_u32_e32 v2, vcc, v16, v2
	v_mad_u64_u32 v[5:6], s[4:5], s3, v6, v[5:6]
	v_add_u32_e32 v6, 0x320, v24
	v_mul_hi_u32 v8, v6, s0
	v_addc_co_u32_e32 v3, vcc, v17, v3, vcc
	v_pack_b32_f16 v7, v15, v23
	global_store_dword v[2:3], v7, off
	v_lshlrev_b64 v[2:3], 2, v[4:5]
	v_lshrrev_b32_e32 v4, 6, v8
	v_mul_u32_u24_e32 v5, 0x3e8, v4
	v_sub_u32_e32 v5, v6, v5
	v_mad_u32_u24 v8, v4, s1, v5
	v_mad_u64_u32 v[4:5], s[0:1], s2, v8, 0
	v_add_u32_e32 v10, 0x3e8, v8
	v_add_co_u32_e32 v2, vcc, v16, v2
	v_mad_u64_u32 v[5:6], s[0:1], s3, v8, v[5:6]
	v_mad_u64_u32 v[6:7], s[0:1], s2, v10, 0
	v_addc_co_u32_e32 v3, vcc, v17, v3, vcc
	v_pack_b32_f16 v9, v60, v39
	global_store_dword v[2:3], v9, off
	v_lshlrev_b64 v[2:3], 2, v[4:5]
	v_mov_b32_e32 v4, v7
	v_mad_u64_u32 v[4:5], s[0:1], s3, v10, v[4:5]
	v_fma_f16 v33, v33, 2.0, -v21
	v_sub_f16_e32 v34, v33, v34
	v_fma_f16 v33, v33, 2.0, -v34
	v_fma_f16 v32, v32, 2.0, -v53
	v_add_co_u32_e32 v2, vcc, v16, v2
	v_addc_co_u32_e32 v3, vcc, v17, v3, vcc
	v_pack_b32_f16 v5, v33, v32
	v_mov_b32_e32 v7, v4
	global_store_dword v[2:3], v5, off
	v_lshlrev_b64 v[2:3], 2, v[6:7]
	v_add_u32_e32 v6, 0x7d0, v8
	v_mad_u64_u32 v[4:5], s[0:1], s2, v6, 0
	v_add_u32_e32 v8, 0xbb8, v8
	v_fma_f16 v21, v21, 2.0, -v0
	v_mad_u64_u32 v[5:6], s[0:1], s3, v6, v[5:6]
	v_mad_u64_u32 v[6:7], s[0:1], s2, v8, 0
	v_add_co_u32_e32 v2, vcc, v16, v2
	v_addc_co_u32_e32 v3, vcc, v17, v3, vcc
	v_pack_b32_f16 v9, v21, v47
	global_store_dword v[2:3], v9, off
	v_lshlrev_b64 v[2:3], 2, v[4:5]
	v_mov_b32_e32 v4, v7
	v_mad_u64_u32 v[4:5], s[0:1], s3, v8, v[4:5]
	v_add_co_u32_e32 v2, vcc, v16, v2
	v_addc_co_u32_e32 v3, vcc, v17, v3, vcc
	v_pack_b32_f16 v5, v34, v53
	v_mov_b32_e32 v7, v4
	global_store_dword v[2:3], v5, off
	v_lshlrev_b64 v[2:3], 2, v[6:7]
	v_pack_b32_f16 v0, v0, v1
	v_add_co_u32_e32 v2, vcc, v16, v2
	v_addc_co_u32_e32 v3, vcc, v17, v3, vcc
	global_store_dword v[2:3], v0, off
.LBB0_15:
	s_endpgm
	.section	.rodata,"a",@progbits
	.p2align	6, 0x0
	.amdhsa_kernel fft_rtc_fwd_len4000_factors_10_10_10_4_wgs_200_tpt_200_halfLds_half_op_CI_CI_sbrr_dirReg
		.amdhsa_group_segment_fixed_size 0
		.amdhsa_private_segment_fixed_size 0
		.amdhsa_kernarg_size 104
		.amdhsa_user_sgpr_count 6
		.amdhsa_user_sgpr_private_segment_buffer 1
		.amdhsa_user_sgpr_dispatch_ptr 0
		.amdhsa_user_sgpr_queue_ptr 0
		.amdhsa_user_sgpr_kernarg_segment_ptr 1
		.amdhsa_user_sgpr_dispatch_id 0
		.amdhsa_user_sgpr_flat_scratch_init 0
		.amdhsa_user_sgpr_private_segment_size 0
		.amdhsa_uses_dynamic_stack 0
		.amdhsa_system_sgpr_private_segment_wavefront_offset 0
		.amdhsa_system_sgpr_workgroup_id_x 1
		.amdhsa_system_sgpr_workgroup_id_y 0
		.amdhsa_system_sgpr_workgroup_id_z 0
		.amdhsa_system_sgpr_workgroup_info 0
		.amdhsa_system_vgpr_workitem_id 0
		.amdhsa_next_free_vgpr 75
		.amdhsa_next_free_sgpr 32
		.amdhsa_reserve_vcc 1
		.amdhsa_reserve_flat_scratch 0
		.amdhsa_float_round_mode_32 0
		.amdhsa_float_round_mode_16_64 0
		.amdhsa_float_denorm_mode_32 3
		.amdhsa_float_denorm_mode_16_64 3
		.amdhsa_dx10_clamp 1
		.amdhsa_ieee_mode 1
		.amdhsa_fp16_overflow 0
		.amdhsa_exception_fp_ieee_invalid_op 0
		.amdhsa_exception_fp_denorm_src 0
		.amdhsa_exception_fp_ieee_div_zero 0
		.amdhsa_exception_fp_ieee_overflow 0
		.amdhsa_exception_fp_ieee_underflow 0
		.amdhsa_exception_fp_ieee_inexact 0
		.amdhsa_exception_int_div_zero 0
	.end_amdhsa_kernel
	.text
.Lfunc_end0:
	.size	fft_rtc_fwd_len4000_factors_10_10_10_4_wgs_200_tpt_200_halfLds_half_op_CI_CI_sbrr_dirReg, .Lfunc_end0-fft_rtc_fwd_len4000_factors_10_10_10_4_wgs_200_tpt_200_halfLds_half_op_CI_CI_sbrr_dirReg
                                        ; -- End function
	.section	.AMDGPU.csdata,"",@progbits
; Kernel info:
; codeLenInByte = 14268
; NumSgprs: 36
; NumVgprs: 75
; ScratchSize: 0
; MemoryBound: 0
; FloatMode: 240
; IeeeMode: 1
; LDSByteSize: 0 bytes/workgroup (compile time only)
; SGPRBlocks: 4
; VGPRBlocks: 18
; NumSGPRsForWavesPerEU: 36
; NumVGPRsForWavesPerEU: 75
; Occupancy: 3
; WaveLimiterHint : 1
; COMPUTE_PGM_RSRC2:SCRATCH_EN: 0
; COMPUTE_PGM_RSRC2:USER_SGPR: 6
; COMPUTE_PGM_RSRC2:TRAP_HANDLER: 0
; COMPUTE_PGM_RSRC2:TGID_X_EN: 1
; COMPUTE_PGM_RSRC2:TGID_Y_EN: 0
; COMPUTE_PGM_RSRC2:TGID_Z_EN: 0
; COMPUTE_PGM_RSRC2:TIDIG_COMP_CNT: 0
	.type	__hip_cuid_d7af76144f937e2,@object ; @__hip_cuid_d7af76144f937e2
	.section	.bss,"aw",@nobits
	.globl	__hip_cuid_d7af76144f937e2
__hip_cuid_d7af76144f937e2:
	.byte	0                               ; 0x0
	.size	__hip_cuid_d7af76144f937e2, 1

	.ident	"AMD clang version 19.0.0git (https://github.com/RadeonOpenCompute/llvm-project roc-6.4.0 25133 c7fe45cf4b819c5991fe208aaa96edf142730f1d)"
	.section	".note.GNU-stack","",@progbits
	.addrsig
	.addrsig_sym __hip_cuid_d7af76144f937e2
	.amdgpu_metadata
---
amdhsa.kernels:
  - .args:
      - .actual_access:  read_only
        .address_space:  global
        .offset:         0
        .size:           8
        .value_kind:     global_buffer
      - .offset:         8
        .size:           8
        .value_kind:     by_value
      - .actual_access:  read_only
        .address_space:  global
        .offset:         16
        .size:           8
        .value_kind:     global_buffer
      - .actual_access:  read_only
        .address_space:  global
        .offset:         24
        .size:           8
        .value_kind:     global_buffer
      - .actual_access:  read_only
        .address_space:  global
        .offset:         32
        .size:           8
        .value_kind:     global_buffer
      - .offset:         40
        .size:           8
        .value_kind:     by_value
      - .actual_access:  read_only
        .address_space:  global
        .offset:         48
        .size:           8
        .value_kind:     global_buffer
      - .actual_access:  read_only
        .address_space:  global
        .offset:         56
        .size:           8
        .value_kind:     global_buffer
      - .offset:         64
        .size:           4
        .value_kind:     by_value
      - .actual_access:  read_only
        .address_space:  global
        .offset:         72
        .size:           8
        .value_kind:     global_buffer
      - .actual_access:  read_only
        .address_space:  global
        .offset:         80
        .size:           8
        .value_kind:     global_buffer
      - .actual_access:  read_only
        .address_space:  global
        .offset:         88
        .size:           8
        .value_kind:     global_buffer
      - .actual_access:  write_only
        .address_space:  global
        .offset:         96
        .size:           8
        .value_kind:     global_buffer
    .group_segment_fixed_size: 0
    .kernarg_segment_align: 8
    .kernarg_segment_size: 104
    .language:       OpenCL C
    .language_version:
      - 2
      - 0
    .max_flat_workgroup_size: 200
    .name:           fft_rtc_fwd_len4000_factors_10_10_10_4_wgs_200_tpt_200_halfLds_half_op_CI_CI_sbrr_dirReg
    .private_segment_fixed_size: 0
    .sgpr_count:     36
    .sgpr_spill_count: 0
    .symbol:         fft_rtc_fwd_len4000_factors_10_10_10_4_wgs_200_tpt_200_halfLds_half_op_CI_CI_sbrr_dirReg.kd
    .uniform_work_group_size: 1
    .uses_dynamic_stack: false
    .vgpr_count:     75
    .vgpr_spill_count: 0
    .wavefront_size: 64
amdhsa.target:   amdgcn-amd-amdhsa--gfx906
amdhsa.version:
  - 1
  - 2
...

	.end_amdgpu_metadata
